;; amdgpu-corpus repo=ROCm/rocSOLVER kind=compiled arch=gfx1201 opt=O3
	.amdgcn_target "amdgcn-amd-amdhsa--gfx1201"
	.amdhsa_code_object_version 6
	.section	.text._ZN9rocsolver6v33100L10ger_kernelIfiPKfPfS4_S4_EEvT0_S5_T1_lT2_lS5_lT3_lS5_lT4_lS5_S5_l,"axG",@progbits,_ZN9rocsolver6v33100L10ger_kernelIfiPKfPfS4_S4_EEvT0_S5_T1_lT2_lS5_lT3_lS5_lT4_lS5_S5_l,comdat
	.globl	_ZN9rocsolver6v33100L10ger_kernelIfiPKfPfS4_S4_EEvT0_S5_T1_lT2_lS5_lT3_lS5_lT4_lS5_S5_l ; -- Begin function _ZN9rocsolver6v33100L10ger_kernelIfiPKfPfS4_S4_EEvT0_S5_T1_lT2_lS5_lT3_lS5_lT4_lS5_S5_l
	.p2align	8
	.type	_ZN9rocsolver6v33100L10ger_kernelIfiPKfPfS4_S4_EEvT0_S5_T1_lT2_lS5_lT3_lS5_lT4_lS5_S5_l,@function
_ZN9rocsolver6v33100L10ger_kernelIfiPKfPfS4_S4_EEvT0_S5_T1_lT2_lS5_lT3_lS5_lT4_lS5_S5_l: ; @_ZN9rocsolver6v33100L10ger_kernelIfiPKfPfS4_S4_EEvT0_S5_T1_lT2_lS5_lT3_lS5_lT4_lS5_S5_l
; %bb.0:
	s_clause 0x1
	s_load_b32 s4, s[0:1], 0x84
	s_load_b64 s[2:3], s[0:1], 0x0
	v_and_b32_e32 v1, 0x3ff, v0
	v_bfe_u32 v0, v0, 10, 10
	s_and_b32 s5, ttmp7, 0xffff
	s_wait_kmcnt 0x0
	s_lshr_b32 s6, s4, 16
	s_and_b32 s4, s4, 0xffff
	s_delay_alu instid0(SALU_CYCLE_1) | instskip(SKIP_1) | instid1(VALU_DEP_2)
	v_mad_co_u64_u32 v[2:3], null, ttmp9, s4, v[1:2]
	v_mad_co_u64_u32 v[0:1], null, s5, s6, v[0:1]
	v_cmp_gt_i32_e32 vcc_lo, s2, v2
	s_delay_alu instid0(VALU_DEP_2)
	v_cmp_gt_i32_e64 s2, s3, v0
	s_and_b32 s2, vcc_lo, s2
	s_wait_alu 0xfffe
	s_and_saveexec_b32 s3, s2
	s_cbranch_execz .LBB0_2
; %bb.1:
	s_clause 0x4
	s_load_b256 s[12:19], s[0:1], 0x50
	s_load_b96 s[24:26], s[0:1], 0x40
	s_load_b128 s[20:23], s[0:1], 0x30
	s_load_b256 s[4:11], s[0:1], 0x8
	s_load_b64 s[2:3], s[0:1], 0x70
	s_wait_kmcnt 0x0
	s_load_b32 s7, s[0:1], 0x28
	s_mov_b32 s1, 0
	s_lshr_b32 s0, ttmp7, 16
	v_mul_lo_u32 v4, v2, s18
	v_mul_lo_u32 v3, v0, s26
	s_wait_alu 0xfffe
	s_mul_u64 s[20:21], s[20:21], s[0:1]
	s_lshl_b64 s[10:11], s[10:11], 2
	s_lshl_b64 s[20:21], s[20:21], 2
	s_wait_kmcnt 0x0
	v_mul_lo_u32 v1, v2, s7
	s_add_nc_u64 s[8:9], s[8:9], s[20:21]
	s_mul_u64 s[12:13], s[12:13], s[0:1]
	v_mad_co_u64_u32 v[5:6], null, v0, s19, v[4:5]
	v_ashrrev_i32_e32 v4, 31, v3
	s_add_nc_u64 s[8:9], s[8:9], s[10:11]
	s_mul_u64 s[2:3], s[2:3], s[0:1]
	s_delay_alu instid0(VALU_DEP_3) | instskip(SKIP_2) | instid1(VALU_DEP_3)
	v_ashrrev_i32_e32 v2, 31, v1
	s_lshl_b64 s[12:13], s[12:13], 2
	s_lshl_b64 s[24:25], s[24:25], 2
	v_ashrrev_i32_e32 v6, 31, v5
	s_wait_alu 0xfffe
	s_lshl_b64 s[2:3], s[2:3], 2
	v_lshlrev_b64_e32 v[0:1], 2, v[1:2]
	v_lshlrev_b64_e32 v[2:3], 2, v[3:4]
	s_add_nc_u64 s[12:13], s[22:23], s[12:13]
	v_lshlrev_b64_e32 v[4:5], 2, v[5:6]
	s_lshl_b64 s[16:17], s[16:17], 2
	s_wait_alu 0xfffe
	s_add_nc_u64 s[2:3], s[14:15], s[2:3]
	v_add_co_u32 v0, vcc_lo, s8, v0
	s_delay_alu instid0(VALU_DEP_1)
	v_add_co_ci_u32_e64 v1, null, s9, v1, vcc_lo
	s_add_nc_u64 s[12:13], s[12:13], s[24:25]
	s_wait_alu 0xfffe
	s_add_nc_u64 s[2:3], s[2:3], s[16:17]
	v_add_co_u32 v2, vcc_lo, s12, v2
	s_wait_alu 0xfffd
	v_add_co_ci_u32_e64 v3, null, s13, v3, vcc_lo
	global_load_b32 v6, v[0:1], off
	s_wait_alu 0xfffe
	v_add_co_u32 v0, vcc_lo, s2, v4
	s_wait_alu 0xfffd
	v_add_co_ci_u32_e64 v1, null, s3, v5, vcc_lo
	global_load_b32 v2, v[2:3], off
	global_load_b32 v3, v[0:1], off
	s_mul_i32 s0, s0, s6
	s_wait_alu 0xfffe
	s_ashr_i32 s1, s0, 31
	s_wait_alu 0xfffe
	s_lshl_b64 s[0:1], s[0:1], 2
	s_wait_alu 0xfffe
	s_add_nc_u64 s[0:1], s[4:5], s[0:1]
	s_load_b32 s0, s[0:1], 0x0
	s_wait_loadcnt 0x2
	s_wait_kmcnt 0x0
	v_mul_f32_e32 v4, s0, v6
	s_wait_loadcnt 0x0
	s_delay_alu instid0(VALU_DEP_1)
	v_fmac_f32_e32 v3, v4, v2
	global_store_b32 v[0:1], v3, off
.LBB0_2:
	s_endpgm
	.section	.rodata,"a",@progbits
	.p2align	6, 0x0
	.amdhsa_kernel _ZN9rocsolver6v33100L10ger_kernelIfiPKfPfS4_S4_EEvT0_S5_T1_lT2_lS5_lT3_lS5_lT4_lS5_S5_l
		.amdhsa_group_segment_fixed_size 0
		.amdhsa_private_segment_fixed_size 0
		.amdhsa_kernarg_size 376
		.amdhsa_user_sgpr_count 2
		.amdhsa_user_sgpr_dispatch_ptr 0
		.amdhsa_user_sgpr_queue_ptr 0
		.amdhsa_user_sgpr_kernarg_segment_ptr 1
		.amdhsa_user_sgpr_dispatch_id 0
		.amdhsa_user_sgpr_private_segment_size 0
		.amdhsa_wavefront_size32 1
		.amdhsa_uses_dynamic_stack 0
		.amdhsa_enable_private_segment 0
		.amdhsa_system_sgpr_workgroup_id_x 1
		.amdhsa_system_sgpr_workgroup_id_y 1
		.amdhsa_system_sgpr_workgroup_id_z 1
		.amdhsa_system_sgpr_workgroup_info 0
		.amdhsa_system_vgpr_workitem_id 1
		.amdhsa_next_free_vgpr 7
		.amdhsa_next_free_sgpr 27
		.amdhsa_reserve_vcc 1
		.amdhsa_float_round_mode_32 0
		.amdhsa_float_round_mode_16_64 0
		.amdhsa_float_denorm_mode_32 3
		.amdhsa_float_denorm_mode_16_64 3
		.amdhsa_fp16_overflow 0
		.amdhsa_workgroup_processor_mode 1
		.amdhsa_memory_ordered 1
		.amdhsa_forward_progress 1
		.amdhsa_inst_pref_size 4
		.amdhsa_round_robin_scheduling 0
		.amdhsa_exception_fp_ieee_invalid_op 0
		.amdhsa_exception_fp_denorm_src 0
		.amdhsa_exception_fp_ieee_div_zero 0
		.amdhsa_exception_fp_ieee_overflow 0
		.amdhsa_exception_fp_ieee_underflow 0
		.amdhsa_exception_fp_ieee_inexact 0
		.amdhsa_exception_int_div_zero 0
	.end_amdhsa_kernel
	.section	.text._ZN9rocsolver6v33100L10ger_kernelIfiPKfPfS4_S4_EEvT0_S5_T1_lT2_lS5_lT3_lS5_lT4_lS5_S5_l,"axG",@progbits,_ZN9rocsolver6v33100L10ger_kernelIfiPKfPfS4_S4_EEvT0_S5_T1_lT2_lS5_lT3_lS5_lT4_lS5_S5_l,comdat
.Lfunc_end0:
	.size	_ZN9rocsolver6v33100L10ger_kernelIfiPKfPfS4_S4_EEvT0_S5_T1_lT2_lS5_lT3_lS5_lT4_lS5_S5_l, .Lfunc_end0-_ZN9rocsolver6v33100L10ger_kernelIfiPKfPfS4_S4_EEvT0_S5_T1_lT2_lS5_lT3_lS5_lT4_lS5_S5_l
                                        ; -- End function
	.set _ZN9rocsolver6v33100L10ger_kernelIfiPKfPfS4_S4_EEvT0_S5_T1_lT2_lS5_lT3_lS5_lT4_lS5_S5_l.num_vgpr, 7
	.set _ZN9rocsolver6v33100L10ger_kernelIfiPKfPfS4_S4_EEvT0_S5_T1_lT2_lS5_lT3_lS5_lT4_lS5_S5_l.num_agpr, 0
	.set _ZN9rocsolver6v33100L10ger_kernelIfiPKfPfS4_S4_EEvT0_S5_T1_lT2_lS5_lT3_lS5_lT4_lS5_S5_l.numbered_sgpr, 27
	.set _ZN9rocsolver6v33100L10ger_kernelIfiPKfPfS4_S4_EEvT0_S5_T1_lT2_lS5_lT3_lS5_lT4_lS5_S5_l.num_named_barrier, 0
	.set _ZN9rocsolver6v33100L10ger_kernelIfiPKfPfS4_S4_EEvT0_S5_T1_lT2_lS5_lT3_lS5_lT4_lS5_S5_l.private_seg_size, 0
	.set _ZN9rocsolver6v33100L10ger_kernelIfiPKfPfS4_S4_EEvT0_S5_T1_lT2_lS5_lT3_lS5_lT4_lS5_S5_l.uses_vcc, 1
	.set _ZN9rocsolver6v33100L10ger_kernelIfiPKfPfS4_S4_EEvT0_S5_T1_lT2_lS5_lT3_lS5_lT4_lS5_S5_l.uses_flat_scratch, 0
	.set _ZN9rocsolver6v33100L10ger_kernelIfiPKfPfS4_S4_EEvT0_S5_T1_lT2_lS5_lT3_lS5_lT4_lS5_S5_l.has_dyn_sized_stack, 0
	.set _ZN9rocsolver6v33100L10ger_kernelIfiPKfPfS4_S4_EEvT0_S5_T1_lT2_lS5_lT3_lS5_lT4_lS5_S5_l.has_recursion, 0
	.set _ZN9rocsolver6v33100L10ger_kernelIfiPKfPfS4_S4_EEvT0_S5_T1_lT2_lS5_lT3_lS5_lT4_lS5_S5_l.has_indirect_call, 0
	.section	.AMDGPU.csdata,"",@progbits
; Kernel info:
; codeLenInByte = 492
; TotalNumSgprs: 29
; NumVgprs: 7
; ScratchSize: 0
; MemoryBound: 0
; FloatMode: 240
; IeeeMode: 1
; LDSByteSize: 0 bytes/workgroup (compile time only)
; SGPRBlocks: 0
; VGPRBlocks: 0
; NumSGPRsForWavesPerEU: 29
; NumVGPRsForWavesPerEU: 7
; Occupancy: 16
; WaveLimiterHint : 0
; COMPUTE_PGM_RSRC2:SCRATCH_EN: 0
; COMPUTE_PGM_RSRC2:USER_SGPR: 2
; COMPUTE_PGM_RSRC2:TRAP_HANDLER: 0
; COMPUTE_PGM_RSRC2:TGID_X_EN: 1
; COMPUTE_PGM_RSRC2:TGID_Y_EN: 1
; COMPUTE_PGM_RSRC2:TGID_Z_EN: 1
; COMPUTE_PGM_RSRC2:TIDIG_COMP_CNT: 1
	.section	.text._ZN9rocsolver6v33100L10ger_kernelIfifPfS2_S2_EEvT0_S3_T1_lT2_lS3_lT3_lS3_lT4_lS3_S3_l,"axG",@progbits,_ZN9rocsolver6v33100L10ger_kernelIfifPfS2_S2_EEvT0_S3_T1_lT2_lS3_lT3_lS3_lT4_lS3_S3_l,comdat
	.globl	_ZN9rocsolver6v33100L10ger_kernelIfifPfS2_S2_EEvT0_S3_T1_lT2_lS3_lT3_lS3_lT4_lS3_S3_l ; -- Begin function _ZN9rocsolver6v33100L10ger_kernelIfifPfS2_S2_EEvT0_S3_T1_lT2_lS3_lT3_lS3_lT4_lS3_S3_l
	.p2align	8
	.type	_ZN9rocsolver6v33100L10ger_kernelIfifPfS2_S2_EEvT0_S3_T1_lT2_lS3_lT3_lS3_lT4_lS3_S3_l,@function
_ZN9rocsolver6v33100L10ger_kernelIfifPfS2_S2_EEvT0_S3_T1_lT2_lS3_lT3_lS3_lT4_lS3_S3_l: ; @_ZN9rocsolver6v33100L10ger_kernelIfifPfS2_S2_EEvT0_S3_T1_lT2_lS3_lT3_lS3_lT4_lS3_S3_l
; %bb.0:
	s_clause 0x1
	s_load_b32 s2, s[0:1], 0x84
	s_load_b96 s[20:22], s[0:1], 0x0
	v_and_b32_e32 v1, 0x3ff, v0
	v_bfe_u32 v0, v0, 10, 10
	s_and_b32 s3, ttmp7, 0xffff
	s_wait_kmcnt 0x0
	s_lshr_b32 s4, s2, 16
	s_and_b32 s2, s2, 0xffff
	s_delay_alu instid0(SALU_CYCLE_1) | instskip(SKIP_1) | instid1(VALU_DEP_2)
	v_mad_co_u64_u32 v[2:3], null, ttmp9, s2, v[1:2]
	v_mad_co_u64_u32 v[0:1], null, s3, s4, v[0:1]
	v_cmp_gt_i32_e32 vcc_lo, s20, v2
	s_delay_alu instid0(VALU_DEP_2)
	v_cmp_gt_i32_e64 s2, s21, v0
	s_and_b32 s2, vcc_lo, s2
	s_wait_alu 0xfffe
	s_and_saveexec_b32 s3, s2
	s_cbranch_execz .LBB1_2
; %bb.1:
	s_clause 0x5
	s_load_b256 s[4:11], s[0:1], 0x50
	s_load_b96 s[24:26], s[0:1], 0x40
	s_load_b128 s[16:19], s[0:1], 0x30
	s_load_b128 s[12:15], s[0:1], 0x18
	s_load_b64 s[2:3], s[0:1], 0x70
	s_load_b32 s23, s[0:1], 0x28
	s_mov_b32 s1, 0
	s_lshr_b32 s0, ttmp7, 16
	s_wait_kmcnt 0x0
	v_mul_lo_u32 v4, v2, s10
	v_mul_lo_u32 v3, v0, s26
	s_wait_alu 0xfffe
	s_mul_u64 s[16:17], s[16:17], s[0:1]
	s_mul_u64 s[4:5], s[4:5], s[0:1]
	;; [unrolled: 1-line block ×3, first 2 shown]
	v_mul_lo_u32 v1, v2, s23
	s_lshl_b64 s[2:3], s[8:9], 2
	s_lshl_b64 s[8:9], s[16:17], 2
	v_mad_co_u64_u32 v[5:6], null, v0, s11, v[4:5]
	v_ashrrev_i32_e32 v4, 31, v3
	s_lshl_b64 s[14:15], s[14:15], 2
	s_wait_alu 0xfffe
	s_lshl_b64 s[0:1], s[0:1], 2
	v_ashrrev_i32_e32 v2, 31, v1
	s_add_nc_u64 s[8:9], s[12:13], s[8:9]
	s_wait_alu 0xfffe
	s_add_nc_u64 s[0:1], s[6:7], s[0:1]
	v_ashrrev_i32_e32 v6, 31, v5
	s_add_nc_u64 s[6:7], s[8:9], s[14:15]
	v_lshlrev_b64_e32 v[0:1], 2, v[1:2]
	s_lshl_b64 s[4:5], s[4:5], 2
	v_lshlrev_b64_e32 v[2:3], 2, v[3:4]
	s_lshl_b64 s[20:21], s[24:25], 2
	s_wait_alu 0xfffe
	s_add_nc_u64 s[4:5], s[18:19], s[4:5]
	v_lshlrev_b64_e32 v[4:5], 2, v[5:6]
	v_add_co_u32 v0, vcc_lo, s6, v0
	s_delay_alu instid0(VALU_DEP_1)
	v_add_co_ci_u32_e64 v1, null, s7, v1, vcc_lo
	s_wait_alu 0xfffe
	s_add_nc_u64 s[4:5], s[4:5], s[20:21]
	s_add_nc_u64 s[0:1], s[0:1], s[2:3]
	s_wait_alu 0xfffe
	v_add_co_u32 v2, vcc_lo, s4, v2
	s_wait_alu 0xfffd
	v_add_co_ci_u32_e64 v3, null, s5, v3, vcc_lo
	global_load_b32 v6, v[0:1], off
	v_add_co_u32 v0, vcc_lo, s0, v4
	s_wait_alu 0xfffd
	v_add_co_ci_u32_e64 v1, null, s1, v5, vcc_lo
	global_load_b32 v2, v[2:3], off
	global_load_b32 v3, v[0:1], off
	s_wait_loadcnt 0x2
	v_mul_f32_e32 v4, s22, v6
	s_wait_loadcnt 0x0
	s_delay_alu instid0(VALU_DEP_1)
	v_fmac_f32_e32 v3, v4, v2
	global_store_b32 v[0:1], v3, off
.LBB1_2:
	s_endpgm
	.section	.rodata,"a",@progbits
	.p2align	6, 0x0
	.amdhsa_kernel _ZN9rocsolver6v33100L10ger_kernelIfifPfS2_S2_EEvT0_S3_T1_lT2_lS3_lT3_lS3_lT4_lS3_S3_l
		.amdhsa_group_segment_fixed_size 0
		.amdhsa_private_segment_fixed_size 0
		.amdhsa_kernarg_size 376
		.amdhsa_user_sgpr_count 2
		.amdhsa_user_sgpr_dispatch_ptr 0
		.amdhsa_user_sgpr_queue_ptr 0
		.amdhsa_user_sgpr_kernarg_segment_ptr 1
		.amdhsa_user_sgpr_dispatch_id 0
		.amdhsa_user_sgpr_private_segment_size 0
		.amdhsa_wavefront_size32 1
		.amdhsa_uses_dynamic_stack 0
		.amdhsa_enable_private_segment 0
		.amdhsa_system_sgpr_workgroup_id_x 1
		.amdhsa_system_sgpr_workgroup_id_y 1
		.amdhsa_system_sgpr_workgroup_id_z 1
		.amdhsa_system_sgpr_workgroup_info 0
		.amdhsa_system_vgpr_workitem_id 1
		.amdhsa_next_free_vgpr 7
		.amdhsa_next_free_sgpr 27
		.amdhsa_reserve_vcc 1
		.amdhsa_float_round_mode_32 0
		.amdhsa_float_round_mode_16_64 0
		.amdhsa_float_denorm_mode_32 3
		.amdhsa_float_denorm_mode_16_64 3
		.amdhsa_fp16_overflow 0
		.amdhsa_workgroup_processor_mode 1
		.amdhsa_memory_ordered 1
		.amdhsa_forward_progress 1
		.amdhsa_inst_pref_size 4
		.amdhsa_round_robin_scheduling 0
		.amdhsa_exception_fp_ieee_invalid_op 0
		.amdhsa_exception_fp_denorm_src 0
		.amdhsa_exception_fp_ieee_div_zero 0
		.amdhsa_exception_fp_ieee_overflow 0
		.amdhsa_exception_fp_ieee_underflow 0
		.amdhsa_exception_fp_ieee_inexact 0
		.amdhsa_exception_int_div_zero 0
	.end_amdhsa_kernel
	.section	.text._ZN9rocsolver6v33100L10ger_kernelIfifPfS2_S2_EEvT0_S3_T1_lT2_lS3_lT3_lS3_lT4_lS3_S3_l,"axG",@progbits,_ZN9rocsolver6v33100L10ger_kernelIfifPfS2_S2_EEvT0_S3_T1_lT2_lS3_lT3_lS3_lT4_lS3_S3_l,comdat
.Lfunc_end1:
	.size	_ZN9rocsolver6v33100L10ger_kernelIfifPfS2_S2_EEvT0_S3_T1_lT2_lS3_lT3_lS3_lT4_lS3_S3_l, .Lfunc_end1-_ZN9rocsolver6v33100L10ger_kernelIfifPfS2_S2_EEvT0_S3_T1_lT2_lS3_lT3_lS3_lT4_lS3_S3_l
                                        ; -- End function
	.set _ZN9rocsolver6v33100L10ger_kernelIfifPfS2_S2_EEvT0_S3_T1_lT2_lS3_lT3_lS3_lT4_lS3_S3_l.num_vgpr, 7
	.set _ZN9rocsolver6v33100L10ger_kernelIfifPfS2_S2_EEvT0_S3_T1_lT2_lS3_lT3_lS3_lT4_lS3_S3_l.num_agpr, 0
	.set _ZN9rocsolver6v33100L10ger_kernelIfifPfS2_S2_EEvT0_S3_T1_lT2_lS3_lT3_lS3_lT4_lS3_S3_l.numbered_sgpr, 27
	.set _ZN9rocsolver6v33100L10ger_kernelIfifPfS2_S2_EEvT0_S3_T1_lT2_lS3_lT3_lS3_lT4_lS3_S3_l.num_named_barrier, 0
	.set _ZN9rocsolver6v33100L10ger_kernelIfifPfS2_S2_EEvT0_S3_T1_lT2_lS3_lT3_lS3_lT4_lS3_S3_l.private_seg_size, 0
	.set _ZN9rocsolver6v33100L10ger_kernelIfifPfS2_S2_EEvT0_S3_T1_lT2_lS3_lT3_lS3_lT4_lS3_S3_l.uses_vcc, 1
	.set _ZN9rocsolver6v33100L10ger_kernelIfifPfS2_S2_EEvT0_S3_T1_lT2_lS3_lT3_lS3_lT4_lS3_S3_l.uses_flat_scratch, 0
	.set _ZN9rocsolver6v33100L10ger_kernelIfifPfS2_S2_EEvT0_S3_T1_lT2_lS3_lT3_lS3_lT4_lS3_S3_l.has_dyn_sized_stack, 0
	.set _ZN9rocsolver6v33100L10ger_kernelIfifPfS2_S2_EEvT0_S3_T1_lT2_lS3_lT3_lS3_lT4_lS3_S3_l.has_recursion, 0
	.set _ZN9rocsolver6v33100L10ger_kernelIfifPfS2_S2_EEvT0_S3_T1_lT2_lS3_lT3_lS3_lT4_lS3_S3_l.has_indirect_call, 0
	.section	.AMDGPU.csdata,"",@progbits
; Kernel info:
; codeLenInByte = 448
; TotalNumSgprs: 29
; NumVgprs: 7
; ScratchSize: 0
; MemoryBound: 0
; FloatMode: 240
; IeeeMode: 1
; LDSByteSize: 0 bytes/workgroup (compile time only)
; SGPRBlocks: 0
; VGPRBlocks: 0
; NumSGPRsForWavesPerEU: 29
; NumVGPRsForWavesPerEU: 7
; Occupancy: 16
; WaveLimiterHint : 0
; COMPUTE_PGM_RSRC2:SCRATCH_EN: 0
; COMPUTE_PGM_RSRC2:USER_SGPR: 2
; COMPUTE_PGM_RSRC2:TRAP_HANDLER: 0
; COMPUTE_PGM_RSRC2:TGID_X_EN: 1
; COMPUTE_PGM_RSRC2:TGID_Y_EN: 1
; COMPUTE_PGM_RSRC2:TGID_Z_EN: 1
; COMPUTE_PGM_RSRC2:TIDIG_COMP_CNT: 1
	.section	.text._ZN9rocsolver6v33100L10ger_kernelIfiPKfPKPfS6_S6_EEvT0_S7_T1_lT2_lS7_lT3_lS7_lT4_lS7_S7_l,"axG",@progbits,_ZN9rocsolver6v33100L10ger_kernelIfiPKfPKPfS6_S6_EEvT0_S7_T1_lT2_lS7_lT3_lS7_lT4_lS7_S7_l,comdat
	.globl	_ZN9rocsolver6v33100L10ger_kernelIfiPKfPKPfS6_S6_EEvT0_S7_T1_lT2_lS7_lT3_lS7_lT4_lS7_S7_l ; -- Begin function _ZN9rocsolver6v33100L10ger_kernelIfiPKfPKPfS6_S6_EEvT0_S7_T1_lT2_lS7_lT3_lS7_lT4_lS7_S7_l
	.p2align	8
	.type	_ZN9rocsolver6v33100L10ger_kernelIfiPKfPKPfS6_S6_EEvT0_S7_T1_lT2_lS7_lT3_lS7_lT4_lS7_S7_l,@function
_ZN9rocsolver6v33100L10ger_kernelIfiPKfPKPfS6_S6_EEvT0_S7_T1_lT2_lS7_lT3_lS7_lT4_lS7_S7_l: ; @_ZN9rocsolver6v33100L10ger_kernelIfiPKfPKPfS6_S6_EEvT0_S7_T1_lT2_lS7_lT3_lS7_lT4_lS7_S7_l
; %bb.0:
	s_clause 0x1
	s_load_b32 s4, s[0:1], 0x84
	s_load_b64 s[2:3], s[0:1], 0x0
	v_and_b32_e32 v1, 0x3ff, v0
	v_bfe_u32 v0, v0, 10, 10
	s_and_b32 s5, ttmp7, 0xffff
	s_wait_kmcnt 0x0
	s_lshr_b32 s6, s4, 16
	s_and_b32 s4, s4, 0xffff
	s_delay_alu instid0(SALU_CYCLE_1) | instskip(SKIP_1) | instid1(VALU_DEP_2)
	v_mad_co_u64_u32 v[2:3], null, ttmp9, s4, v[1:2]
	v_mad_co_u64_u32 v[0:1], null, s5, s6, v[0:1]
	v_cmp_gt_i32_e32 vcc_lo, s2, v2
	s_delay_alu instid0(VALU_DEP_2)
	v_cmp_gt_i32_e64 s2, s3, v0
	s_and_b32 s2, vcc_lo, s2
	s_wait_alu 0xfffe
	s_and_saveexec_b32 s3, s2
	s_cbranch_execz .LBB2_2
; %bb.1:
	s_clause 0x3
	s_load_b128 s[12:15], s[0:1], 0x38
	s_load_b256 s[4:11], s[0:1], 0x8
	s_load_b128 s[16:19], s[0:1], 0x58
	s_load_b64 s[2:3], s[0:1], 0x68
	s_wait_kmcnt 0x0
	s_clause 0x1
	s_load_b32 s7, s[0:1], 0x28
	s_load_b32 s20, s[0:1], 0x48
	s_lshr_b32 s21, ttmp7, 16
	s_delay_alu instid0(SALU_CYCLE_1)
	s_lshl_b32 s22, s21, 3
	s_load_b64 s[0:1], s[12:13], s22 offset:0x0
	s_load_b64 s[8:9], s[8:9], s22 offset:0x0
	;; [unrolled: 1-line block ×3, first 2 shown]
	v_mul_lo_u32 v1, v2, s2
	s_wait_kmcnt 0x0
	v_mul_lo_u32 v2, v2, s7
	v_mul_lo_u32 v4, v0, s20
	s_lshl_b64 s[10:11], s[10:11], 2
	s_delay_alu instid0(VALU_DEP_2) | instskip(SKIP_1) | instid1(VALU_DEP_3)
	v_mad_co_u64_u32 v[0:1], null, v0, s3, v[1:2]
	v_ashrrev_i32_e32 v3, 31, v2
	v_ashrrev_i32_e32 v5, 31, v4
	s_lshl_b64 s[2:3], s[14:15], 2
	s_lshl_b64 s[14:15], s[18:19], 2
	s_delay_alu instid0(VALU_DEP_2) | instskip(NEXT) | instid1(VALU_DEP_4)
	v_lshlrev_b64_e32 v[2:3], 2, v[2:3]
	v_ashrrev_i32_e32 v1, 31, v0
	v_lshlrev_b64_e32 v[4:5], 2, v[4:5]
	s_wait_alu 0xfffe
	s_add_nc_u64 s[0:1], s[0:1], s[2:3]
	s_add_nc_u64 s[2:3], s[8:9], s[10:11]
	;; [unrolled: 1-line block ×3, first 2 shown]
	v_lshlrev_b64_e32 v[0:1], 2, v[0:1]
	s_wait_alu 0xfffe
	v_add_co_u32 v2, vcc_lo, s2, v2
	s_delay_alu instid0(VALU_DEP_1)
	v_add_co_ci_u32_e64 v3, null, s3, v3, vcc_lo
	v_add_co_u32 v4, vcc_lo, s0, v4
	s_wait_alu 0xfffd
	v_add_co_ci_u32_e64 v5, null, s1, v5, vcc_lo
	v_add_co_u32 v0, vcc_lo, s8, v0
	flat_load_b32 v2, v[2:3]
	s_wait_alu 0xfffd
	v_add_co_ci_u32_e64 v1, null, s9, v1, vcc_lo
	flat_load_b32 v3, v[4:5]
	flat_load_b32 v4, v[0:1]
	s_mul_i32 s0, s21, s6
	s_wait_alu 0xfffe
	s_ashr_i32 s1, s0, 31
	s_wait_alu 0xfffe
	s_lshl_b64 s[0:1], s[0:1], 2
	s_wait_alu 0xfffe
	s_add_nc_u64 s[0:1], s[4:5], s[0:1]
	s_load_b32 s0, s[0:1], 0x0
	s_wait_loadcnt_dscnt 0x202
	s_wait_kmcnt 0x0
	v_mul_f32_e32 v2, s0, v2
	s_wait_loadcnt_dscnt 0x0
	s_delay_alu instid0(VALU_DEP_1)
	v_fmac_f32_e32 v4, v2, v3
	flat_store_b32 v[0:1], v4
.LBB2_2:
	s_endpgm
	.section	.rodata,"a",@progbits
	.p2align	6, 0x0
	.amdhsa_kernel _ZN9rocsolver6v33100L10ger_kernelIfiPKfPKPfS6_S6_EEvT0_S7_T1_lT2_lS7_lT3_lS7_lT4_lS7_S7_l
		.amdhsa_group_segment_fixed_size 0
		.amdhsa_private_segment_fixed_size 0
		.amdhsa_kernarg_size 376
		.amdhsa_user_sgpr_count 2
		.amdhsa_user_sgpr_dispatch_ptr 0
		.amdhsa_user_sgpr_queue_ptr 0
		.amdhsa_user_sgpr_kernarg_segment_ptr 1
		.amdhsa_user_sgpr_dispatch_id 0
		.amdhsa_user_sgpr_private_segment_size 0
		.amdhsa_wavefront_size32 1
		.amdhsa_uses_dynamic_stack 0
		.amdhsa_enable_private_segment 0
		.amdhsa_system_sgpr_workgroup_id_x 1
		.amdhsa_system_sgpr_workgroup_id_y 1
		.amdhsa_system_sgpr_workgroup_id_z 1
		.amdhsa_system_sgpr_workgroup_info 0
		.amdhsa_system_vgpr_workitem_id 1
		.amdhsa_next_free_vgpr 6
		.amdhsa_next_free_sgpr 23
		.amdhsa_reserve_vcc 1
		.amdhsa_float_round_mode_32 0
		.amdhsa_float_round_mode_16_64 0
		.amdhsa_float_denorm_mode_32 3
		.amdhsa_float_denorm_mode_16_64 3
		.amdhsa_fp16_overflow 0
		.amdhsa_workgroup_processor_mode 1
		.amdhsa_memory_ordered 1
		.amdhsa_forward_progress 1
		.amdhsa_inst_pref_size 4
		.amdhsa_round_robin_scheduling 0
		.amdhsa_exception_fp_ieee_invalid_op 0
		.amdhsa_exception_fp_denorm_src 0
		.amdhsa_exception_fp_ieee_div_zero 0
		.amdhsa_exception_fp_ieee_overflow 0
		.amdhsa_exception_fp_ieee_underflow 0
		.amdhsa_exception_fp_ieee_inexact 0
		.amdhsa_exception_int_div_zero 0
	.end_amdhsa_kernel
	.section	.text._ZN9rocsolver6v33100L10ger_kernelIfiPKfPKPfS6_S6_EEvT0_S7_T1_lT2_lS7_lT3_lS7_lT4_lS7_S7_l,"axG",@progbits,_ZN9rocsolver6v33100L10ger_kernelIfiPKfPKPfS6_S6_EEvT0_S7_T1_lT2_lS7_lT3_lS7_lT4_lS7_S7_l,comdat
.Lfunc_end2:
	.size	_ZN9rocsolver6v33100L10ger_kernelIfiPKfPKPfS6_S6_EEvT0_S7_T1_lT2_lS7_lT3_lS7_lT4_lS7_S7_l, .Lfunc_end2-_ZN9rocsolver6v33100L10ger_kernelIfiPKfPKPfS6_S6_EEvT0_S7_T1_lT2_lS7_lT3_lS7_lT4_lS7_S7_l
                                        ; -- End function
	.set _ZN9rocsolver6v33100L10ger_kernelIfiPKfPKPfS6_S6_EEvT0_S7_T1_lT2_lS7_lT3_lS7_lT4_lS7_S7_l.num_vgpr, 6
	.set _ZN9rocsolver6v33100L10ger_kernelIfiPKfPKPfS6_S6_EEvT0_S7_T1_lT2_lS7_lT3_lS7_lT4_lS7_S7_l.num_agpr, 0
	.set _ZN9rocsolver6v33100L10ger_kernelIfiPKfPKPfS6_S6_EEvT0_S7_T1_lT2_lS7_lT3_lS7_lT4_lS7_S7_l.numbered_sgpr, 23
	.set _ZN9rocsolver6v33100L10ger_kernelIfiPKfPKPfS6_S6_EEvT0_S7_T1_lT2_lS7_lT3_lS7_lT4_lS7_S7_l.num_named_barrier, 0
	.set _ZN9rocsolver6v33100L10ger_kernelIfiPKfPKPfS6_S6_EEvT0_S7_T1_lT2_lS7_lT3_lS7_lT4_lS7_S7_l.private_seg_size, 0
	.set _ZN9rocsolver6v33100L10ger_kernelIfiPKfPKPfS6_S6_EEvT0_S7_T1_lT2_lS7_lT3_lS7_lT4_lS7_S7_l.uses_vcc, 1
	.set _ZN9rocsolver6v33100L10ger_kernelIfiPKfPKPfS6_S6_EEvT0_S7_T1_lT2_lS7_lT3_lS7_lT4_lS7_S7_l.uses_flat_scratch, 0
	.set _ZN9rocsolver6v33100L10ger_kernelIfiPKfPKPfS6_S6_EEvT0_S7_T1_lT2_lS7_lT3_lS7_lT4_lS7_S7_l.has_dyn_sized_stack, 0
	.set _ZN9rocsolver6v33100L10ger_kernelIfiPKfPKPfS6_S6_EEvT0_S7_T1_lT2_lS7_lT3_lS7_lT4_lS7_S7_l.has_recursion, 0
	.set _ZN9rocsolver6v33100L10ger_kernelIfiPKfPKPfS6_S6_EEvT0_S7_T1_lT2_lS7_lT3_lS7_lT4_lS7_S7_l.has_indirect_call, 0
	.section	.AMDGPU.csdata,"",@progbits
; Kernel info:
; codeLenInByte = 480
; TotalNumSgprs: 25
; NumVgprs: 6
; ScratchSize: 0
; MemoryBound: 0
; FloatMode: 240
; IeeeMode: 1
; LDSByteSize: 0 bytes/workgroup (compile time only)
; SGPRBlocks: 0
; VGPRBlocks: 0
; NumSGPRsForWavesPerEU: 25
; NumVGPRsForWavesPerEU: 6
; Occupancy: 16
; WaveLimiterHint : 1
; COMPUTE_PGM_RSRC2:SCRATCH_EN: 0
; COMPUTE_PGM_RSRC2:USER_SGPR: 2
; COMPUTE_PGM_RSRC2:TRAP_HANDLER: 0
; COMPUTE_PGM_RSRC2:TGID_X_EN: 1
; COMPUTE_PGM_RSRC2:TGID_Y_EN: 1
; COMPUTE_PGM_RSRC2:TGID_Z_EN: 1
; COMPUTE_PGM_RSRC2:TIDIG_COMP_CNT: 1
	.section	.text._ZN9rocsolver6v33100L10ger_kernelIfifPKPfS4_S4_EEvT0_S5_T1_lT2_lS5_lT3_lS5_lT4_lS5_S5_l,"axG",@progbits,_ZN9rocsolver6v33100L10ger_kernelIfifPKPfS4_S4_EEvT0_S5_T1_lT2_lS5_lT3_lS5_lT4_lS5_S5_l,comdat
	.globl	_ZN9rocsolver6v33100L10ger_kernelIfifPKPfS4_S4_EEvT0_S5_T1_lT2_lS5_lT3_lS5_lT4_lS5_S5_l ; -- Begin function _ZN9rocsolver6v33100L10ger_kernelIfifPKPfS4_S4_EEvT0_S5_T1_lT2_lS5_lT3_lS5_lT4_lS5_S5_l
	.p2align	8
	.type	_ZN9rocsolver6v33100L10ger_kernelIfifPKPfS4_S4_EEvT0_S5_T1_lT2_lS5_lT3_lS5_lT4_lS5_S5_l,@function
_ZN9rocsolver6v33100L10ger_kernelIfifPKPfS4_S4_EEvT0_S5_T1_lT2_lS5_lT3_lS5_lT4_lS5_S5_l: ; @_ZN9rocsolver6v33100L10ger_kernelIfifPKPfS4_S4_EEvT0_S5_T1_lT2_lS5_lT3_lS5_lT4_lS5_S5_l
; %bb.0:
	s_clause 0x1
	s_load_b32 s2, s[0:1], 0x84
	s_load_b96 s[12:14], s[0:1], 0x0
	v_and_b32_e32 v1, 0x3ff, v0
	v_bfe_u32 v0, v0, 10, 10
	s_and_b32 s3, ttmp7, 0xffff
	s_wait_kmcnt 0x0
	s_lshr_b32 s4, s2, 16
	s_and_b32 s2, s2, 0xffff
	s_delay_alu instid0(SALU_CYCLE_1) | instskip(SKIP_1) | instid1(VALU_DEP_2)
	v_mad_co_u64_u32 v[2:3], null, ttmp9, s2, v[1:2]
	v_mad_co_u64_u32 v[0:1], null, s3, s4, v[0:1]
	v_cmp_gt_i32_e32 vcc_lo, s12, v2
	s_delay_alu instid0(VALU_DEP_2)
	v_cmp_gt_i32_e64 s2, s13, v0
	s_and_b32 s2, vcc_lo, s2
	s_wait_alu 0xfffe
	s_and_saveexec_b32 s3, s2
	s_cbranch_execz .LBB3_2
; %bb.1:
	s_clause 0x5
	s_load_b128 s[8:11], s[0:1], 0x38
	s_load_b128 s[4:7], s[0:1], 0x18
	;; [unrolled: 1-line block ×3, first 2 shown]
	s_load_b64 s[2:3], s[0:1], 0x68
	s_load_b32 s12, s[0:1], 0x28
	s_load_b32 s13, s[0:1], 0x48
	s_lshr_b32 s0, ttmp7, 13
	s_wait_alu 0xfffe
	s_and_b32 s15, s0, 0x7fff8
	s_wait_kmcnt 0x0
	s_load_b64 s[0:1], s[8:9], s15 offset:0x0
	s_load_b64 s[4:5], s[4:5], s15 offset:0x0
	;; [unrolled: 1-line block ×3, first 2 shown]
	v_mul_lo_u32 v1, v2, s2
	v_mul_lo_u32 v2, v2, s12
	;; [unrolled: 1-line block ×3, first 2 shown]
	s_lshl_b64 s[6:7], s[6:7], 2
	s_delay_alu instid0(VALU_DEP_2) | instskip(SKIP_1) | instid1(VALU_DEP_3)
	v_mad_co_u64_u32 v[0:1], null, v0, s3, v[1:2]
	v_ashrrev_i32_e32 v3, 31, v2
	v_ashrrev_i32_e32 v5, 31, v4
	s_lshl_b64 s[2:3], s[10:11], 2
	s_lshl_b64 s[10:11], s[18:19], 2
	s_delay_alu instid0(VALU_DEP_2) | instskip(NEXT) | instid1(VALU_DEP_4)
	v_lshlrev_b64_e32 v[2:3], 2, v[2:3]
	v_ashrrev_i32_e32 v1, 31, v0
	v_lshlrev_b64_e32 v[4:5], 2, v[4:5]
	s_wait_kmcnt 0x0
	s_wait_alu 0xfffe
	s_add_nc_u64 s[0:1], s[0:1], s[2:3]
	s_add_nc_u64 s[2:3], s[4:5], s[6:7]
	;; [unrolled: 1-line block ×3, first 2 shown]
	v_lshlrev_b64_e32 v[0:1], 2, v[0:1]
	s_wait_alu 0xfffe
	v_add_co_u32 v2, vcc_lo, s2, v2
	s_delay_alu instid0(VALU_DEP_1)
	v_add_co_ci_u32_e64 v3, null, s3, v3, vcc_lo
	v_add_co_u32 v4, vcc_lo, s0, v4
	s_wait_alu 0xfffd
	v_add_co_ci_u32_e64 v5, null, s1, v5, vcc_lo
	v_add_co_u32 v0, vcc_lo, s4, v0
	flat_load_b32 v2, v[2:3]
	s_wait_alu 0xfffd
	v_add_co_ci_u32_e64 v1, null, s5, v1, vcc_lo
	flat_load_b32 v3, v[4:5]
	flat_load_b32 v4, v[0:1]
	s_wait_loadcnt_dscnt 0x202
	v_mul_f32_e32 v2, s14, v2
	s_wait_loadcnt_dscnt 0x0
	s_delay_alu instid0(VALU_DEP_1)
	v_fmac_f32_e32 v4, v2, v3
	flat_store_b32 v[0:1], v4
.LBB3_2:
	s_endpgm
	.section	.rodata,"a",@progbits
	.p2align	6, 0x0
	.amdhsa_kernel _ZN9rocsolver6v33100L10ger_kernelIfifPKPfS4_S4_EEvT0_S5_T1_lT2_lS5_lT3_lS5_lT4_lS5_S5_l
		.amdhsa_group_segment_fixed_size 0
		.amdhsa_private_segment_fixed_size 0
		.amdhsa_kernarg_size 376
		.amdhsa_user_sgpr_count 2
		.amdhsa_user_sgpr_dispatch_ptr 0
		.amdhsa_user_sgpr_queue_ptr 0
		.amdhsa_user_sgpr_kernarg_segment_ptr 1
		.amdhsa_user_sgpr_dispatch_id 0
		.amdhsa_user_sgpr_private_segment_size 0
		.amdhsa_wavefront_size32 1
		.amdhsa_uses_dynamic_stack 0
		.amdhsa_enable_private_segment 0
		.amdhsa_system_sgpr_workgroup_id_x 1
		.amdhsa_system_sgpr_workgroup_id_y 1
		.amdhsa_system_sgpr_workgroup_id_z 1
		.amdhsa_system_sgpr_workgroup_info 0
		.amdhsa_system_vgpr_workitem_id 1
		.amdhsa_next_free_vgpr 6
		.amdhsa_next_free_sgpr 20
		.amdhsa_reserve_vcc 1
		.amdhsa_float_round_mode_32 0
		.amdhsa_float_round_mode_16_64 0
		.amdhsa_float_denorm_mode_32 3
		.amdhsa_float_denorm_mode_16_64 3
		.amdhsa_fp16_overflow 0
		.amdhsa_workgroup_processor_mode 1
		.amdhsa_memory_ordered 1
		.amdhsa_forward_progress 1
		.amdhsa_inst_pref_size 4
		.amdhsa_round_robin_scheduling 0
		.amdhsa_exception_fp_ieee_invalid_op 0
		.amdhsa_exception_fp_denorm_src 0
		.amdhsa_exception_fp_ieee_div_zero 0
		.amdhsa_exception_fp_ieee_overflow 0
		.amdhsa_exception_fp_ieee_underflow 0
		.amdhsa_exception_fp_ieee_inexact 0
		.amdhsa_exception_int_div_zero 0
	.end_amdhsa_kernel
	.section	.text._ZN9rocsolver6v33100L10ger_kernelIfifPKPfS4_S4_EEvT0_S5_T1_lT2_lS5_lT3_lS5_lT4_lS5_S5_l,"axG",@progbits,_ZN9rocsolver6v33100L10ger_kernelIfifPKPfS4_S4_EEvT0_S5_T1_lT2_lS5_lT3_lS5_lT4_lS5_S5_l,comdat
.Lfunc_end3:
	.size	_ZN9rocsolver6v33100L10ger_kernelIfifPKPfS4_S4_EEvT0_S5_T1_lT2_lS5_lT3_lS5_lT4_lS5_S5_l, .Lfunc_end3-_ZN9rocsolver6v33100L10ger_kernelIfifPKPfS4_S4_EEvT0_S5_T1_lT2_lS5_lT3_lS5_lT4_lS5_S5_l
                                        ; -- End function
	.set _ZN9rocsolver6v33100L10ger_kernelIfifPKPfS4_S4_EEvT0_S5_T1_lT2_lS5_lT3_lS5_lT4_lS5_S5_l.num_vgpr, 6
	.set _ZN9rocsolver6v33100L10ger_kernelIfifPKPfS4_S4_EEvT0_S5_T1_lT2_lS5_lT3_lS5_lT4_lS5_S5_l.num_agpr, 0
	.set _ZN9rocsolver6v33100L10ger_kernelIfifPKPfS4_S4_EEvT0_S5_T1_lT2_lS5_lT3_lS5_lT4_lS5_S5_l.numbered_sgpr, 20
	.set _ZN9rocsolver6v33100L10ger_kernelIfifPKPfS4_S4_EEvT0_S5_T1_lT2_lS5_lT3_lS5_lT4_lS5_S5_l.num_named_barrier, 0
	.set _ZN9rocsolver6v33100L10ger_kernelIfifPKPfS4_S4_EEvT0_S5_T1_lT2_lS5_lT3_lS5_lT4_lS5_S5_l.private_seg_size, 0
	.set _ZN9rocsolver6v33100L10ger_kernelIfifPKPfS4_S4_EEvT0_S5_T1_lT2_lS5_lT3_lS5_lT4_lS5_S5_l.uses_vcc, 1
	.set _ZN9rocsolver6v33100L10ger_kernelIfifPKPfS4_S4_EEvT0_S5_T1_lT2_lS5_lT3_lS5_lT4_lS5_S5_l.uses_flat_scratch, 0
	.set _ZN9rocsolver6v33100L10ger_kernelIfifPKPfS4_S4_EEvT0_S5_T1_lT2_lS5_lT3_lS5_lT4_lS5_S5_l.has_dyn_sized_stack, 0
	.set _ZN9rocsolver6v33100L10ger_kernelIfifPKPfS4_S4_EEvT0_S5_T1_lT2_lS5_lT3_lS5_lT4_lS5_S5_l.has_recursion, 0
	.set _ZN9rocsolver6v33100L10ger_kernelIfifPKPfS4_S4_EEvT0_S5_T1_lT2_lS5_lT3_lS5_lT4_lS5_S5_l.has_indirect_call, 0
	.section	.AMDGPU.csdata,"",@progbits
; Kernel info:
; codeLenInByte = 440
; TotalNumSgprs: 22
; NumVgprs: 6
; ScratchSize: 0
; MemoryBound: 0
; FloatMode: 240
; IeeeMode: 1
; LDSByteSize: 0 bytes/workgroup (compile time only)
; SGPRBlocks: 0
; VGPRBlocks: 0
; NumSGPRsForWavesPerEU: 22
; NumVGPRsForWavesPerEU: 6
; Occupancy: 16
; WaveLimiterHint : 1
; COMPUTE_PGM_RSRC2:SCRATCH_EN: 0
; COMPUTE_PGM_RSRC2:USER_SGPR: 2
; COMPUTE_PGM_RSRC2:TRAP_HANDLER: 0
; COMPUTE_PGM_RSRC2:TGID_X_EN: 1
; COMPUTE_PGM_RSRC2:TGID_Y_EN: 1
; COMPUTE_PGM_RSRC2:TGID_Z_EN: 1
; COMPUTE_PGM_RSRC2:TIDIG_COMP_CNT: 1
	.section	.text._ZN9rocsolver6v33100L10ger_kernelIflPKfPfS4_S4_EEvT0_S5_T1_lT2_lS5_lT3_lS5_lT4_lS5_S5_l,"axG",@progbits,_ZN9rocsolver6v33100L10ger_kernelIflPKfPfS4_S4_EEvT0_S5_T1_lT2_lS5_lT3_lS5_lT4_lS5_S5_l,comdat
	.globl	_ZN9rocsolver6v33100L10ger_kernelIflPKfPfS4_S4_EEvT0_S5_T1_lT2_lS5_lT3_lS5_lT4_lS5_S5_l ; -- Begin function _ZN9rocsolver6v33100L10ger_kernelIflPKfPfS4_S4_EEvT0_S5_T1_lT2_lS5_lT3_lS5_lT4_lS5_S5_l
	.p2align	8
	.type	_ZN9rocsolver6v33100L10ger_kernelIflPKfPfS4_S4_EEvT0_S5_T1_lT2_lS5_lT3_lS5_lT4_lS5_S5_l,@function
_ZN9rocsolver6v33100L10ger_kernelIflPKfPfS4_S4_EEvT0_S5_T1_lT2_lS5_lT3_lS5_lT4_lS5_S5_l: ; @_ZN9rocsolver6v33100L10ger_kernelIflPKfPfS4_S4_EEvT0_S5_T1_lT2_lS5_lT3_lS5_lT4_lS5_S5_l
; %bb.0:
	s_clause 0x1
	s_load_b32 s2, s[0:1], 0x94
	s_load_b512 s[4:19], s[0:1], 0x0
	v_dual_mov_b32 v5, 0 :: v_dual_and_b32 v4, 0x3ff, v0
	s_wait_kmcnt 0x0
	s_and_b32 s3, s2, 0xffff
	s_lshr_b32 s2, s2, 16
	s_delay_alu instid0(VALU_DEP_1) | instskip(SKIP_3) | instid1(VALU_DEP_1)
	v_mad_co_u64_u32 v[2:3], null, s3, ttmp9, v[4:5]
	v_bfe_u32 v4, v0, 10, 10
	s_and_b32 s3, ttmp7, 0xffff
	s_wait_alu 0xfffe
	v_mad_co_u64_u32 v[0:1], null, s2, s3, v[4:5]
	s_delay_alu instid0(VALU_DEP_3) | instskip(NEXT) | instid1(VALU_DEP_2)
	v_cmp_gt_i64_e32 vcc_lo, s[4:5], v[2:3]
	v_cmp_gt_i64_e64 s2, s[6:7], v[0:1]
	s_and_b32 s2, vcc_lo, s2
	s_wait_alu 0xfffe
	s_and_saveexec_b32 s3, s2
	s_cbranch_execz .LBB4_2
; %bb.1:
	s_clause 0x1
	s_load_b512 s[36:51], s[0:1], 0x40
	s_load_b64 s[0:1], s[0:1], 0x80
	v_mul_lo_u32 v6, v3, s16
	v_mul_lo_u32 v7, v2, s17
	v_mad_co_u64_u32 v[4:5], null, v2, s16, 0
	s_mov_b32 s3, 0
	s_lshr_b32 s2, ttmp7, 16
	s_lshl_b64 s[6:7], s[14:15], 2
	s_wait_alu 0xfffe
	s_mul_u64 s[4:5], s[18:19], s[2:3]
	s_wait_alu 0xfffe
	s_lshl_b64 s[4:5], s[4:5], 2
	v_add3_u32 v5, v5, v7, v6
	s_wait_alu 0xfffe
	s_add_nc_u64 s[4:5], s[12:13], s[4:5]
	s_wait_alu 0xfffe
	s_add_nc_u64 s[4:5], s[4:5], s[6:7]
	v_lshlrev_b64_e32 v[4:5], 2, v[4:5]
	s_wait_kmcnt 0x0
	v_mul_lo_u32 v8, v3, s48
	v_mul_lo_u32 v9, v2, s49
	v_mad_co_u64_u32 v[2:3], null, v2, s48, 0
	v_mul_lo_u32 v10, v1, s40
	v_mul_lo_u32 v11, v0, s41
	v_mad_co_u64_u32 v[6:7], null, v0, s40, 0
	s_wait_alu 0xfffe
	v_add_co_u32 v4, vcc_lo, s4, v4
	v_add3_u32 v3, v3, v9, v8
	v_mul_lo_u32 v8, v1, s50
	v_mul_lo_u32 v9, v0, s51
	v_mad_co_u64_u32 v[0:1], null, v0, s50, 0
	s_mul_u64 s[0:1], s[0:1], s[2:3]
	v_add_co_ci_u32_e64 v5, null, s5, v5, vcc_lo
	v_add3_u32 v7, v7, v11, v10
	s_wait_alu 0xfffe
	s_lshl_b64 s[0:1], s[0:1], 2
	v_lshlrev_b64_e32 v[2:3], 2, v[2:3]
	v_add3_u32 v1, v1, v9, v8
	s_mul_u64 s[6:7], s[42:43], s[2:3]
	s_wait_alu 0xfffe
	s_add_nc_u64 s[0:1], s[44:45], s[0:1]
	s_lshl_b64 s[4:5], s[46:47], 2
	s_lshl_b64 s[6:7], s[6:7], 2
	global_load_b32 v10, v[4:5], off
	v_lshlrev_b64_e32 v[4:5], 2, v[6:7]
	s_wait_alu 0xfffe
	s_add_nc_u64 s[0:1], s[0:1], s[4:5]
	s_lshl_b64 s[12:13], s[38:39], 2
	s_add_nc_u64 s[6:7], s[36:37], s[6:7]
	v_lshlrev_b64_e32 v[0:1], 2, v[0:1]
	s_wait_alu 0xfffe
	v_add_co_u32 v6, vcc_lo, s0, v2
	s_add_nc_u64 s[6:7], s[6:7], s[12:13]
	s_wait_alu 0xfffd
	v_add_co_ci_u32_e64 v7, null, s1, v3, vcc_lo
	s_wait_alu 0xfffe
	v_add_co_u32 v2, vcc_lo, s6, v4
	s_wait_alu 0xfffd
	v_add_co_ci_u32_e64 v3, null, s7, v5, vcc_lo
	v_add_co_u32 v0, vcc_lo, v6, v0
	s_wait_alu 0xfffd
	v_add_co_ci_u32_e64 v1, null, v7, v1, vcc_lo
	global_load_b32 v2, v[2:3], off
	global_load_b32 v3, v[0:1], off
	s_mul_i32 s0, s2, s10
	s_wait_alu 0xfffe
	s_ashr_i32 s1, s0, 31
	s_wait_alu 0xfffe
	s_lshl_b64 s[0:1], s[0:1], 2
	s_wait_alu 0xfffe
	s_add_nc_u64 s[0:1], s[8:9], s[0:1]
	s_load_b32 s0, s[0:1], 0x0
	s_wait_loadcnt 0x2
	s_wait_kmcnt 0x0
	v_mul_f32_e32 v4, s0, v10
	s_wait_loadcnt 0x0
	s_delay_alu instid0(VALU_DEP_1)
	v_fmac_f32_e32 v3, v4, v2
	global_store_b32 v[0:1], v3, off
.LBB4_2:
	s_endpgm
	.section	.rodata,"a",@progbits
	.p2align	6, 0x0
	.amdhsa_kernel _ZN9rocsolver6v33100L10ger_kernelIflPKfPfS4_S4_EEvT0_S5_T1_lT2_lS5_lT3_lS5_lT4_lS5_S5_l
		.amdhsa_group_segment_fixed_size 0
		.amdhsa_private_segment_fixed_size 0
		.amdhsa_kernarg_size 392
		.amdhsa_user_sgpr_count 2
		.amdhsa_user_sgpr_dispatch_ptr 0
		.amdhsa_user_sgpr_queue_ptr 0
		.amdhsa_user_sgpr_kernarg_segment_ptr 1
		.amdhsa_user_sgpr_dispatch_id 0
		.amdhsa_user_sgpr_private_segment_size 0
		.amdhsa_wavefront_size32 1
		.amdhsa_uses_dynamic_stack 0
		.amdhsa_enable_private_segment 0
		.amdhsa_system_sgpr_workgroup_id_x 1
		.amdhsa_system_sgpr_workgroup_id_y 1
		.amdhsa_system_sgpr_workgroup_id_z 1
		.amdhsa_system_sgpr_workgroup_info 0
		.amdhsa_system_vgpr_workitem_id 1
		.amdhsa_next_free_vgpr 12
		.amdhsa_next_free_sgpr 52
		.amdhsa_reserve_vcc 1
		.amdhsa_float_round_mode_32 0
		.amdhsa_float_round_mode_16_64 0
		.amdhsa_float_denorm_mode_32 3
		.amdhsa_float_denorm_mode_16_64 3
		.amdhsa_fp16_overflow 0
		.amdhsa_workgroup_processor_mode 1
		.amdhsa_memory_ordered 1
		.amdhsa_forward_progress 1
		.amdhsa_inst_pref_size 5
		.amdhsa_round_robin_scheduling 0
		.amdhsa_exception_fp_ieee_invalid_op 0
		.amdhsa_exception_fp_denorm_src 0
		.amdhsa_exception_fp_ieee_div_zero 0
		.amdhsa_exception_fp_ieee_overflow 0
		.amdhsa_exception_fp_ieee_underflow 0
		.amdhsa_exception_fp_ieee_inexact 0
		.amdhsa_exception_int_div_zero 0
	.end_amdhsa_kernel
	.section	.text._ZN9rocsolver6v33100L10ger_kernelIflPKfPfS4_S4_EEvT0_S5_T1_lT2_lS5_lT3_lS5_lT4_lS5_S5_l,"axG",@progbits,_ZN9rocsolver6v33100L10ger_kernelIflPKfPfS4_S4_EEvT0_S5_T1_lT2_lS5_lT3_lS5_lT4_lS5_S5_l,comdat
.Lfunc_end4:
	.size	_ZN9rocsolver6v33100L10ger_kernelIflPKfPfS4_S4_EEvT0_S5_T1_lT2_lS5_lT3_lS5_lT4_lS5_S5_l, .Lfunc_end4-_ZN9rocsolver6v33100L10ger_kernelIflPKfPfS4_S4_EEvT0_S5_T1_lT2_lS5_lT3_lS5_lT4_lS5_S5_l
                                        ; -- End function
	.set _ZN9rocsolver6v33100L10ger_kernelIflPKfPfS4_S4_EEvT0_S5_T1_lT2_lS5_lT3_lS5_lT4_lS5_S5_l.num_vgpr, 12
	.set _ZN9rocsolver6v33100L10ger_kernelIflPKfPfS4_S4_EEvT0_S5_T1_lT2_lS5_lT3_lS5_lT4_lS5_S5_l.num_agpr, 0
	.set _ZN9rocsolver6v33100L10ger_kernelIflPKfPfS4_S4_EEvT0_S5_T1_lT2_lS5_lT3_lS5_lT4_lS5_S5_l.numbered_sgpr, 52
	.set _ZN9rocsolver6v33100L10ger_kernelIflPKfPfS4_S4_EEvT0_S5_T1_lT2_lS5_lT3_lS5_lT4_lS5_S5_l.num_named_barrier, 0
	.set _ZN9rocsolver6v33100L10ger_kernelIflPKfPfS4_S4_EEvT0_S5_T1_lT2_lS5_lT3_lS5_lT4_lS5_S5_l.private_seg_size, 0
	.set _ZN9rocsolver6v33100L10ger_kernelIflPKfPfS4_S4_EEvT0_S5_T1_lT2_lS5_lT3_lS5_lT4_lS5_S5_l.uses_vcc, 1
	.set _ZN9rocsolver6v33100L10ger_kernelIflPKfPfS4_S4_EEvT0_S5_T1_lT2_lS5_lT3_lS5_lT4_lS5_S5_l.uses_flat_scratch, 0
	.set _ZN9rocsolver6v33100L10ger_kernelIflPKfPfS4_S4_EEvT0_S5_T1_lT2_lS5_lT3_lS5_lT4_lS5_S5_l.has_dyn_sized_stack, 0
	.set _ZN9rocsolver6v33100L10ger_kernelIflPKfPfS4_S4_EEvT0_S5_T1_lT2_lS5_lT3_lS5_lT4_lS5_S5_l.has_recursion, 0
	.set _ZN9rocsolver6v33100L10ger_kernelIflPKfPfS4_S4_EEvT0_S5_T1_lT2_lS5_lT3_lS5_lT4_lS5_S5_l.has_indirect_call, 0
	.section	.AMDGPU.csdata,"",@progbits
; Kernel info:
; codeLenInByte = 584
; TotalNumSgprs: 54
; NumVgprs: 12
; ScratchSize: 0
; MemoryBound: 0
; FloatMode: 240
; IeeeMode: 1
; LDSByteSize: 0 bytes/workgroup (compile time only)
; SGPRBlocks: 0
; VGPRBlocks: 1
; NumSGPRsForWavesPerEU: 54
; NumVGPRsForWavesPerEU: 12
; Occupancy: 16
; WaveLimiterHint : 0
; COMPUTE_PGM_RSRC2:SCRATCH_EN: 0
; COMPUTE_PGM_RSRC2:USER_SGPR: 2
; COMPUTE_PGM_RSRC2:TRAP_HANDLER: 0
; COMPUTE_PGM_RSRC2:TGID_X_EN: 1
; COMPUTE_PGM_RSRC2:TGID_Y_EN: 1
; COMPUTE_PGM_RSRC2:TGID_Z_EN: 1
; COMPUTE_PGM_RSRC2:TIDIG_COMP_CNT: 1
	.section	.text._ZN9rocsolver6v33100L10ger_kernelIflfPfS2_S2_EEvT0_S3_T1_lT2_lS3_lT3_lS3_lT4_lS3_S3_l,"axG",@progbits,_ZN9rocsolver6v33100L10ger_kernelIflfPfS2_S2_EEvT0_S3_T1_lT2_lS3_lT3_lS3_lT4_lS3_S3_l,comdat
	.globl	_ZN9rocsolver6v33100L10ger_kernelIflfPfS2_S2_EEvT0_S3_T1_lT2_lS3_lT3_lS3_lT4_lS3_S3_l ; -- Begin function _ZN9rocsolver6v33100L10ger_kernelIflfPfS2_S2_EEvT0_S3_T1_lT2_lS3_lT3_lS3_lT4_lS3_S3_l
	.p2align	8
	.type	_ZN9rocsolver6v33100L10ger_kernelIflfPfS2_S2_EEvT0_S3_T1_lT2_lS3_lT3_lS3_lT4_lS3_S3_l,@function
_ZN9rocsolver6v33100L10ger_kernelIflfPfS2_S2_EEvT0_S3_T1_lT2_lS3_lT3_lS3_lT4_lS3_S3_l: ; @_ZN9rocsolver6v33100L10ger_kernelIflfPfS2_S2_EEvT0_S3_T1_lT2_lS3_lT3_lS3_lT4_lS3_S3_l
; %bb.0:
	s_clause 0x1
	s_load_b32 s2, s[0:1], 0x94
	s_load_b128 s[4:7], s[0:1], 0x0
	v_dual_mov_b32 v4, 0 :: v_dual_and_b32 v3, 0x3ff, v0
	s_wait_kmcnt 0x0
	s_and_b32 s3, s2, 0xffff
	s_lshr_b32 s2, s2, 16
	s_delay_alu instid0(VALU_DEP_1) | instskip(SKIP_3) | instid1(VALU_DEP_1)
	v_mad_co_u64_u32 v[1:2], null, s3, ttmp9, v[3:4]
	v_bfe_u32 v3, v0, 10, 10
	s_and_b32 s3, ttmp7, 0xffff
	s_wait_alu 0xfffe
	v_mad_co_u64_u32 v[3:4], null, s2, s3, v[3:4]
	s_delay_alu instid0(VALU_DEP_3) | instskip(NEXT) | instid1(VALU_DEP_2)
	v_cmp_gt_i64_e32 vcc_lo, s[4:5], v[1:2]
	v_cmp_gt_i64_e64 s2, s[6:7], v[3:4]
	s_and_b32 s2, vcc_lo, s2
	s_wait_alu 0xfffe
	s_and_saveexec_b32 s3, s2
	s_cbranch_execz .LBB5_2
; %bb.1:
	s_clause 0x2
	s_load_b512 s[4:19], s[0:1], 0x20
	s_load_b64 s[2:3], s[0:1], 0x80
	s_load_b256 s[20:27], s[0:1], 0x60
	s_mov_b32 s29, 0
	s_lshr_b32 s28, ttmp7, 16
	s_load_b32 s0, s[0:1], 0x10
	s_wait_kmcnt 0x0
	v_mul_lo_u32 v9, v2, s8
	v_mul_lo_u32 v10, v1, s9
	v_mad_co_u64_u32 v[5:6], null, v1, s8, 0
	v_mul_lo_u32 v13, v2, s24
	v_mul_lo_u32 v14, v1, s25
	v_mad_co_u64_u32 v[0:1], null, v1, s24, 0
	s_mul_u64 s[10:11], s[10:11], s[28:29]
	v_mul_lo_u32 v11, v4, s16
	v_add3_u32 v6, v6, v10, v9
	v_mul_lo_u32 v12, v3, s17
	v_mad_co_u64_u32 v[7:8], null, v3, s16, 0
	v_mul_lo_u32 v15, v4, s26
	s_lshl_b64 s[10:11], s[10:11], 2
	v_lshlrev_b64_e32 v[4:5], 2, v[5:6]
	s_lshl_b64 s[6:7], s[6:7], 2
	v_mul_lo_u32 v16, v3, s27
	v_mad_co_u64_u32 v[2:3], null, v3, s26, 0
	s_add_nc_u64 s[4:5], s[4:5], s[10:11]
	v_add3_u32 v1, v1, v14, v13
	s_wait_alu 0xfffe
	s_add_nc_u64 s[4:5], s[4:5], s[6:7]
	s_mul_u64 s[2:3], s[2:3], s[28:29]
	s_wait_alu 0xfffe
	v_add_co_u32 v4, vcc_lo, s4, v4
	s_lshl_b64 s[2:3], s[2:3], 2
	v_lshlrev_b64_e32 v[0:1], 2, v[0:1]
	v_add_co_ci_u32_e64 v5, null, s5, v5, vcc_lo
	v_add3_u32 v8, v8, v12, v11
	s_wait_alu 0xfffe
	s_add_nc_u64 s[2:3], s[20:21], s[2:3]
	s_lshl_b64 s[4:5], s[22:23], 2
	v_add3_u32 v3, v3, v16, v15
	s_mul_u64 s[18:19], s[18:19], s[28:29]
	s_wait_alu 0xfffe
	s_add_nc_u64 s[2:3], s[2:3], s[4:5]
	s_lshl_b64 s[8:9], s[18:19], 2
	global_load_b32 v6, v[4:5], off
	v_lshlrev_b64_e32 v[4:5], 2, v[7:8]
	s_wait_alu 0xfffe
	v_add_co_u32 v7, vcc_lo, s2, v0
	s_lshl_b64 s[14:15], s[14:15], 2
	s_add_nc_u64 s[8:9], s[12:13], s[8:9]
	s_wait_alu 0xfffd
	v_add_co_ci_u32_e64 v8, null, s3, v1, vcc_lo
	v_lshlrev_b64_e32 v[0:1], 2, v[2:3]
	s_wait_alu 0xfffe
	s_add_nc_u64 s[8:9], s[8:9], s[14:15]
	s_wait_alu 0xfffe
	v_add_co_u32 v2, vcc_lo, s8, v4
	s_wait_alu 0xfffd
	v_add_co_ci_u32_e64 v3, null, s9, v5, vcc_lo
	v_add_co_u32 v0, vcc_lo, v7, v0
	s_wait_alu 0xfffd
	v_add_co_ci_u32_e64 v1, null, v8, v1, vcc_lo
	global_load_b32 v2, v[2:3], off
	global_load_b32 v3, v[0:1], off
	s_wait_loadcnt 0x2
	v_mul_f32_e32 v4, s0, v6
	s_wait_loadcnt 0x0
	s_delay_alu instid0(VALU_DEP_1)
	v_fmac_f32_e32 v3, v4, v2
	global_store_b32 v[0:1], v3, off
.LBB5_2:
	s_endpgm
	.section	.rodata,"a",@progbits
	.p2align	6, 0x0
	.amdhsa_kernel _ZN9rocsolver6v33100L10ger_kernelIflfPfS2_S2_EEvT0_S3_T1_lT2_lS3_lT3_lS3_lT4_lS3_S3_l
		.amdhsa_group_segment_fixed_size 0
		.amdhsa_private_segment_fixed_size 0
		.amdhsa_kernarg_size 392
		.amdhsa_user_sgpr_count 2
		.amdhsa_user_sgpr_dispatch_ptr 0
		.amdhsa_user_sgpr_queue_ptr 0
		.amdhsa_user_sgpr_kernarg_segment_ptr 1
		.amdhsa_user_sgpr_dispatch_id 0
		.amdhsa_user_sgpr_private_segment_size 0
		.amdhsa_wavefront_size32 1
		.amdhsa_uses_dynamic_stack 0
		.amdhsa_enable_private_segment 0
		.amdhsa_system_sgpr_workgroup_id_x 1
		.amdhsa_system_sgpr_workgroup_id_y 1
		.amdhsa_system_sgpr_workgroup_id_z 1
		.amdhsa_system_sgpr_workgroup_info 0
		.amdhsa_system_vgpr_workitem_id 1
		.amdhsa_next_free_vgpr 17
		.amdhsa_next_free_sgpr 30
		.amdhsa_reserve_vcc 1
		.amdhsa_float_round_mode_32 0
		.amdhsa_float_round_mode_16_64 0
		.amdhsa_float_denorm_mode_32 3
		.amdhsa_float_denorm_mode_16_64 3
		.amdhsa_fp16_overflow 0
		.amdhsa_workgroup_processor_mode 1
		.amdhsa_memory_ordered 1
		.amdhsa_forward_progress 1
		.amdhsa_inst_pref_size 5
		.amdhsa_round_robin_scheduling 0
		.amdhsa_exception_fp_ieee_invalid_op 0
		.amdhsa_exception_fp_denorm_src 0
		.amdhsa_exception_fp_ieee_div_zero 0
		.amdhsa_exception_fp_ieee_overflow 0
		.amdhsa_exception_fp_ieee_underflow 0
		.amdhsa_exception_fp_ieee_inexact 0
		.amdhsa_exception_int_div_zero 0
	.end_amdhsa_kernel
	.section	.text._ZN9rocsolver6v33100L10ger_kernelIflfPfS2_S2_EEvT0_S3_T1_lT2_lS3_lT3_lS3_lT4_lS3_S3_l,"axG",@progbits,_ZN9rocsolver6v33100L10ger_kernelIflfPfS2_S2_EEvT0_S3_T1_lT2_lS3_lT3_lS3_lT4_lS3_S3_l,comdat
.Lfunc_end5:
	.size	_ZN9rocsolver6v33100L10ger_kernelIflfPfS2_S2_EEvT0_S3_T1_lT2_lS3_lT3_lS3_lT4_lS3_S3_l, .Lfunc_end5-_ZN9rocsolver6v33100L10ger_kernelIflfPfS2_S2_EEvT0_S3_T1_lT2_lS3_lT3_lS3_lT4_lS3_S3_l
                                        ; -- End function
	.set _ZN9rocsolver6v33100L10ger_kernelIflfPfS2_S2_EEvT0_S3_T1_lT2_lS3_lT3_lS3_lT4_lS3_S3_l.num_vgpr, 17
	.set _ZN9rocsolver6v33100L10ger_kernelIflfPfS2_S2_EEvT0_S3_T1_lT2_lS3_lT3_lS3_lT4_lS3_S3_l.num_agpr, 0
	.set _ZN9rocsolver6v33100L10ger_kernelIflfPfS2_S2_EEvT0_S3_T1_lT2_lS3_lT3_lS3_lT4_lS3_S3_l.numbered_sgpr, 30
	.set _ZN9rocsolver6v33100L10ger_kernelIflfPfS2_S2_EEvT0_S3_T1_lT2_lS3_lT3_lS3_lT4_lS3_S3_l.num_named_barrier, 0
	.set _ZN9rocsolver6v33100L10ger_kernelIflfPfS2_S2_EEvT0_S3_T1_lT2_lS3_lT3_lS3_lT4_lS3_S3_l.private_seg_size, 0
	.set _ZN9rocsolver6v33100L10ger_kernelIflfPfS2_S2_EEvT0_S3_T1_lT2_lS3_lT3_lS3_lT4_lS3_S3_l.uses_vcc, 1
	.set _ZN9rocsolver6v33100L10ger_kernelIflfPfS2_S2_EEvT0_S3_T1_lT2_lS3_lT3_lS3_lT4_lS3_S3_l.uses_flat_scratch, 0
	.set _ZN9rocsolver6v33100L10ger_kernelIflfPfS2_S2_EEvT0_S3_T1_lT2_lS3_lT3_lS3_lT4_lS3_S3_l.has_dyn_sized_stack, 0
	.set _ZN9rocsolver6v33100L10ger_kernelIflfPfS2_S2_EEvT0_S3_T1_lT2_lS3_lT3_lS3_lT4_lS3_S3_l.has_recursion, 0
	.set _ZN9rocsolver6v33100L10ger_kernelIflfPfS2_S2_EEvT0_S3_T1_lT2_lS3_lT3_lS3_lT4_lS3_S3_l.has_indirect_call, 0
	.section	.AMDGPU.csdata,"",@progbits
; Kernel info:
; codeLenInByte = 548
; TotalNumSgprs: 32
; NumVgprs: 17
; ScratchSize: 0
; MemoryBound: 0
; FloatMode: 240
; IeeeMode: 1
; LDSByteSize: 0 bytes/workgroup (compile time only)
; SGPRBlocks: 0
; VGPRBlocks: 2
; NumSGPRsForWavesPerEU: 32
; NumVGPRsForWavesPerEU: 17
; Occupancy: 16
; WaveLimiterHint : 0
; COMPUTE_PGM_RSRC2:SCRATCH_EN: 0
; COMPUTE_PGM_RSRC2:USER_SGPR: 2
; COMPUTE_PGM_RSRC2:TRAP_HANDLER: 0
; COMPUTE_PGM_RSRC2:TGID_X_EN: 1
; COMPUTE_PGM_RSRC2:TGID_Y_EN: 1
; COMPUTE_PGM_RSRC2:TGID_Z_EN: 1
; COMPUTE_PGM_RSRC2:TIDIG_COMP_CNT: 1
	.section	.text._ZN9rocsolver6v33100L10ger_kernelIflPKfPKPfS6_S6_EEvT0_S7_T1_lT2_lS7_lT3_lS7_lT4_lS7_S7_l,"axG",@progbits,_ZN9rocsolver6v33100L10ger_kernelIflPKfPKPfS6_S6_EEvT0_S7_T1_lT2_lS7_lT3_lS7_lT4_lS7_S7_l,comdat
	.globl	_ZN9rocsolver6v33100L10ger_kernelIflPKfPKPfS6_S6_EEvT0_S7_T1_lT2_lS7_lT3_lS7_lT4_lS7_S7_l ; -- Begin function _ZN9rocsolver6v33100L10ger_kernelIflPKfPKPfS6_S6_EEvT0_S7_T1_lT2_lS7_lT3_lS7_lT4_lS7_S7_l
	.p2align	8
	.type	_ZN9rocsolver6v33100L10ger_kernelIflPKfPKPfS6_S6_EEvT0_S7_T1_lT2_lS7_lT3_lS7_lT4_lS7_S7_l,@function
_ZN9rocsolver6v33100L10ger_kernelIflPKfPKPfS6_S6_EEvT0_S7_T1_lT2_lS7_lT3_lS7_lT4_lS7_S7_l: ; @_ZN9rocsolver6v33100L10ger_kernelIflPKfPKPfS6_S6_EEvT0_S7_T1_lT2_lS7_lT3_lS7_lT4_lS7_S7_l
; %bb.0:
	s_clause 0x1
	s_load_b32 s2, s[0:1], 0x94
	s_load_b256 s[4:11], s[0:1], 0x0
	v_dual_mov_b32 v4, 0 :: v_dual_and_b32 v3, 0x3ff, v0
	s_wait_kmcnt 0x0
	s_and_b32 s3, s2, 0xffff
	s_lshr_b32 s2, s2, 16
	s_delay_alu instid0(VALU_DEP_1) | instskip(SKIP_3) | instid1(VALU_DEP_1)
	v_mad_co_u64_u32 v[1:2], null, s3, ttmp9, v[3:4]
	v_bfe_u32 v3, v0, 10, 10
	s_and_b32 s3, ttmp7, 0xffff
	s_wait_alu 0xfffe
	v_mad_co_u64_u32 v[3:4], null, s2, s3, v[3:4]
	s_delay_alu instid0(VALU_DEP_3) | instskip(NEXT) | instid1(VALU_DEP_2)
	v_cmp_gt_i64_e32 vcc_lo, s[4:5], v[1:2]
	v_cmp_gt_i64_e64 s2, s[6:7], v[3:4]
	s_and_b32 s2, vcc_lo, s2
	s_wait_alu 0xfffe
	s_and_saveexec_b32 s3, s2
	s_cbranch_execz .LBB6_2
; %bb.1:
	s_clause 0x3
	s_load_b128 s[4:7], s[0:1], 0x40
	s_load_b256 s[20:27], s[0:1], 0x20
	s_load_b256 s[12:19], s[0:1], 0x60
	s_load_b64 s[0:1], s[0:1], 0x50
	s_lshr_b32 s11, ttmp7, 16
	s_wait_kmcnt 0x0
	s_lshl_b32 s26, s11, 3
	s_load_b64 s[2:3], s[4:5], s26 offset:0x0
	s_load_b64 s[4:5], s[20:21], s26 offset:0x0
	;; [unrolled: 1-line block ×3, first 2 shown]
	v_mul_lo_u32 v9, v2, s24
	v_mul_lo_u32 v10, v1, s25
	v_mad_co_u64_u32 v[5:6], null, v1, s24, 0
	v_mul_lo_u32 v13, v2, s16
	v_mul_lo_u32 v14, v1, s17
	v_mad_co_u64_u32 v[0:1], null, v1, s16, 0
	;; [unrolled: 3-line block ×4, first 2 shown]
	v_add3_u32 v6, v6, v10, v9
	v_add3_u32 v1, v1, v14, v13
	;; [unrolled: 1-line block ×3, first 2 shown]
	s_lshl_b64 s[0:1], s[6:7], 2
	s_lshl_b64 s[6:7], s[22:23], 2
	s_lshl_b64 s[14:15], s[14:15], 2
	s_delay_alu instid0(VALU_DEP_4)
	v_add3_u32 v3, v3, v15, v4
	v_lshlrev_b64_e32 v[4:5], 2, v[5:6]
	v_lshlrev_b64_e32 v[0:1], 2, v[0:1]
	s_wait_kmcnt 0x0
	s_wait_alu 0xfffe
	s_add_nc_u64 s[0:1], s[2:3], s[0:1]
	s_add_nc_u64 s[2:3], s[4:5], s[6:7]
	v_lshlrev_b64_e32 v[6:7], 2, v[7:8]
	s_add_nc_u64 s[4:5], s[12:13], s[14:15]
	s_wait_alu 0xfffe
	v_add_co_u32 v4, vcc_lo, s2, v4
	v_lshlrev_b64_e32 v[2:3], 2, v[2:3]
	v_add_co_ci_u32_e64 v5, null, s3, v5, vcc_lo
	v_add_co_u32 v8, vcc_lo, s4, v0
	s_wait_alu 0xfffd
	v_add_co_ci_u32_e64 v9, null, s5, v1, vcc_lo
	v_add_co_u32 v0, vcc_lo, s0, v6
	s_wait_alu 0xfffd
	v_add_co_ci_u32_e64 v1, null, s1, v7, vcc_lo
	v_add_co_u32 v2, vcc_lo, v8, v2
	flat_load_b32 v4, v[4:5]
	s_wait_alu 0xfffd
	v_add_co_ci_u32_e64 v3, null, v9, v3, vcc_lo
	flat_load_b32 v0, v[0:1]
	flat_load_b32 v1, v[2:3]
	s_mul_i32 s0, s11, s10
	s_wait_alu 0xfffe
	s_ashr_i32 s1, s0, 31
	s_wait_alu 0xfffe
	s_lshl_b64 s[0:1], s[0:1], 2
	s_wait_alu 0xfffe
	s_add_nc_u64 s[0:1], s[8:9], s[0:1]
	s_load_b32 s0, s[0:1], 0x0
	s_wait_loadcnt_dscnt 0x202
	s_wait_kmcnt 0x0
	v_mul_f32_e32 v4, s0, v4
	s_wait_loadcnt_dscnt 0x0
	s_delay_alu instid0(VALU_DEP_1)
	v_fmac_f32_e32 v1, v4, v0
	flat_store_b32 v[2:3], v1
.LBB6_2:
	s_endpgm
	.section	.rodata,"a",@progbits
	.p2align	6, 0x0
	.amdhsa_kernel _ZN9rocsolver6v33100L10ger_kernelIflPKfPKPfS6_S6_EEvT0_S7_T1_lT2_lS7_lT3_lS7_lT4_lS7_S7_l
		.amdhsa_group_segment_fixed_size 0
		.amdhsa_private_segment_fixed_size 0
		.amdhsa_kernarg_size 392
		.amdhsa_user_sgpr_count 2
		.amdhsa_user_sgpr_dispatch_ptr 0
		.amdhsa_user_sgpr_queue_ptr 0
		.amdhsa_user_sgpr_kernarg_segment_ptr 1
		.amdhsa_user_sgpr_dispatch_id 0
		.amdhsa_user_sgpr_private_segment_size 0
		.amdhsa_wavefront_size32 1
		.amdhsa_uses_dynamic_stack 0
		.amdhsa_enable_private_segment 0
		.amdhsa_system_sgpr_workgroup_id_x 1
		.amdhsa_system_sgpr_workgroup_id_y 1
		.amdhsa_system_sgpr_workgroup_id_z 1
		.amdhsa_system_sgpr_workgroup_info 0
		.amdhsa_system_vgpr_workitem_id 1
		.amdhsa_next_free_vgpr 16
		.amdhsa_next_free_sgpr 28
		.amdhsa_reserve_vcc 1
		.amdhsa_float_round_mode_32 0
		.amdhsa_float_round_mode_16_64 0
		.amdhsa_float_denorm_mode_32 3
		.amdhsa_float_denorm_mode_16_64 3
		.amdhsa_fp16_overflow 0
		.amdhsa_workgroup_processor_mode 1
		.amdhsa_memory_ordered 1
		.amdhsa_forward_progress 1
		.amdhsa_inst_pref_size 5
		.amdhsa_round_robin_scheduling 0
		.amdhsa_exception_fp_ieee_invalid_op 0
		.amdhsa_exception_fp_denorm_src 0
		.amdhsa_exception_fp_ieee_div_zero 0
		.amdhsa_exception_fp_ieee_overflow 0
		.amdhsa_exception_fp_ieee_underflow 0
		.amdhsa_exception_fp_ieee_inexact 0
		.amdhsa_exception_int_div_zero 0
	.end_amdhsa_kernel
	.section	.text._ZN9rocsolver6v33100L10ger_kernelIflPKfPKPfS6_S6_EEvT0_S7_T1_lT2_lS7_lT3_lS7_lT4_lS7_S7_l,"axG",@progbits,_ZN9rocsolver6v33100L10ger_kernelIflPKfPKPfS6_S6_EEvT0_S7_T1_lT2_lS7_lT3_lS7_lT4_lS7_S7_l,comdat
.Lfunc_end6:
	.size	_ZN9rocsolver6v33100L10ger_kernelIflPKfPKPfS6_S6_EEvT0_S7_T1_lT2_lS7_lT3_lS7_lT4_lS7_S7_l, .Lfunc_end6-_ZN9rocsolver6v33100L10ger_kernelIflPKfPKPfS6_S6_EEvT0_S7_T1_lT2_lS7_lT3_lS7_lT4_lS7_S7_l
                                        ; -- End function
	.set _ZN9rocsolver6v33100L10ger_kernelIflPKfPKPfS6_S6_EEvT0_S7_T1_lT2_lS7_lT3_lS7_lT4_lS7_S7_l.num_vgpr, 16
	.set _ZN9rocsolver6v33100L10ger_kernelIflPKfPKPfS6_S6_EEvT0_S7_T1_lT2_lS7_lT3_lS7_lT4_lS7_S7_l.num_agpr, 0
	.set _ZN9rocsolver6v33100L10ger_kernelIflPKfPKPfS6_S6_EEvT0_S7_T1_lT2_lS7_lT3_lS7_lT4_lS7_S7_l.numbered_sgpr, 28
	.set _ZN9rocsolver6v33100L10ger_kernelIflPKfPKPfS6_S6_EEvT0_S7_T1_lT2_lS7_lT3_lS7_lT4_lS7_S7_l.num_named_barrier, 0
	.set _ZN9rocsolver6v33100L10ger_kernelIflPKfPKPfS6_S6_EEvT0_S7_T1_lT2_lS7_lT3_lS7_lT4_lS7_S7_l.private_seg_size, 0
	.set _ZN9rocsolver6v33100L10ger_kernelIflPKfPKPfS6_S6_EEvT0_S7_T1_lT2_lS7_lT3_lS7_lT4_lS7_S7_l.uses_vcc, 1
	.set _ZN9rocsolver6v33100L10ger_kernelIflPKfPKPfS6_S6_EEvT0_S7_T1_lT2_lS7_lT3_lS7_lT4_lS7_S7_l.uses_flat_scratch, 0
	.set _ZN9rocsolver6v33100L10ger_kernelIflPKfPKPfS6_S6_EEvT0_S7_T1_lT2_lS7_lT3_lS7_lT4_lS7_S7_l.has_dyn_sized_stack, 0
	.set _ZN9rocsolver6v33100L10ger_kernelIflPKfPKPfS6_S6_EEvT0_S7_T1_lT2_lS7_lT3_lS7_lT4_lS7_S7_l.has_recursion, 0
	.set _ZN9rocsolver6v33100L10ger_kernelIflPKfPKPfS6_S6_EEvT0_S7_T1_lT2_lS7_lT3_lS7_lT4_lS7_S7_l.has_indirect_call, 0
	.section	.AMDGPU.csdata,"",@progbits
; Kernel info:
; codeLenInByte = 564
; TotalNumSgprs: 30
; NumVgprs: 16
; ScratchSize: 0
; MemoryBound: 0
; FloatMode: 240
; IeeeMode: 1
; LDSByteSize: 0 bytes/workgroup (compile time only)
; SGPRBlocks: 0
; VGPRBlocks: 1
; NumSGPRsForWavesPerEU: 30
; NumVGPRsForWavesPerEU: 16
; Occupancy: 16
; WaveLimiterHint : 1
; COMPUTE_PGM_RSRC2:SCRATCH_EN: 0
; COMPUTE_PGM_RSRC2:USER_SGPR: 2
; COMPUTE_PGM_RSRC2:TRAP_HANDLER: 0
; COMPUTE_PGM_RSRC2:TGID_X_EN: 1
; COMPUTE_PGM_RSRC2:TGID_Y_EN: 1
; COMPUTE_PGM_RSRC2:TGID_Z_EN: 1
; COMPUTE_PGM_RSRC2:TIDIG_COMP_CNT: 1
	.section	.text._ZN9rocsolver6v33100L10ger_kernelIflfPKPfS4_S4_EEvT0_S5_T1_lT2_lS5_lT3_lS5_lT4_lS5_S5_l,"axG",@progbits,_ZN9rocsolver6v33100L10ger_kernelIflfPKPfS4_S4_EEvT0_S5_T1_lT2_lS5_lT3_lS5_lT4_lS5_S5_l,comdat
	.globl	_ZN9rocsolver6v33100L10ger_kernelIflfPKPfS4_S4_EEvT0_S5_T1_lT2_lS5_lT3_lS5_lT4_lS5_S5_l ; -- Begin function _ZN9rocsolver6v33100L10ger_kernelIflfPKPfS4_S4_EEvT0_S5_T1_lT2_lS5_lT3_lS5_lT4_lS5_S5_l
	.p2align	8
	.type	_ZN9rocsolver6v33100L10ger_kernelIflfPKPfS4_S4_EEvT0_S5_T1_lT2_lS5_lT3_lS5_lT4_lS5_S5_l,@function
_ZN9rocsolver6v33100L10ger_kernelIflfPKPfS4_S4_EEvT0_S5_T1_lT2_lS5_lT3_lS5_lT4_lS5_S5_l: ; @_ZN9rocsolver6v33100L10ger_kernelIflfPKPfS4_S4_EEvT0_S5_T1_lT2_lS5_lT3_lS5_lT4_lS5_S5_l
; %bb.0:
	s_clause 0x1
	s_load_b32 s2, s[0:1], 0x94
	s_load_b128 s[4:7], s[0:1], 0x0
	v_dual_mov_b32 v4, 0 :: v_dual_and_b32 v3, 0x3ff, v0
	s_wait_kmcnt 0x0
	s_and_b32 s3, s2, 0xffff
	s_lshr_b32 s2, s2, 16
	s_delay_alu instid0(VALU_DEP_1) | instskip(SKIP_3) | instid1(VALU_DEP_1)
	v_mad_co_u64_u32 v[1:2], null, s3, ttmp9, v[3:4]
	v_bfe_u32 v3, v0, 10, 10
	s_and_b32 s3, ttmp7, 0xffff
	s_wait_alu 0xfffe
	v_mad_co_u64_u32 v[3:4], null, s2, s3, v[3:4]
	s_delay_alu instid0(VALU_DEP_3) | instskip(NEXT) | instid1(VALU_DEP_2)
	v_cmp_gt_i64_e32 vcc_lo, s[4:5], v[1:2]
	v_cmp_gt_i64_e64 s2, s[6:7], v[3:4]
	s_and_b32 s2, vcc_lo, s2
	s_wait_alu 0xfffe
	s_and_saveexec_b32 s3, s2
	s_cbranch_execz .LBB7_2
; %bb.1:
	s_clause 0x4
	s_load_b128 s[16:19], s[0:1], 0x40
	s_load_b128 s[12:15], s[0:1], 0x20
	s_load_b256 s[4:11], s[0:1], 0x60
	s_load_b64 s[2:3], s[0:1], 0x30
	s_load_b64 s[20:21], s[0:1], 0x50
	s_lshr_b32 s22, ttmp7, 13
	s_load_b32 s0, s[0:1], 0x10
	s_and_b32 s22, s22, 0x7fff8
	s_wait_kmcnt 0x0
	s_load_b64 s[16:17], s[16:17], s22 offset:0x0
	s_load_b64 s[12:13], s[12:13], s22 offset:0x0
	;; [unrolled: 1-line block ×3, first 2 shown]
	v_mul_lo_u32 v9, v2, s2
	v_mul_lo_u32 v10, v1, s3
	v_mad_co_u64_u32 v[5:6], null, v1, s2, 0
	v_mul_lo_u32 v13, v2, s8
	v_mul_lo_u32 v14, v1, s9
	v_mad_co_u64_u32 v[0:1], null, v1, s8, 0
	v_mul_lo_u32 v11, v4, s20
	v_mul_lo_u32 v12, v3, s21
	v_mad_co_u64_u32 v[7:8], null, v3, s20, 0
	v_mul_lo_u32 v4, v4, s10
	v_mul_lo_u32 v15, v3, s11
	v_mad_co_u64_u32 v[2:3], null, v3, s10, 0
	v_add3_u32 v6, v6, v10, v9
	v_add3_u32 v1, v1, v14, v13
	s_lshl_b64 s[8:9], s[14:15], 2
	v_add3_u32 v8, v8, v12, v11
	s_lshl_b64 s[6:7], s[6:7], 2
	s_wait_kmcnt 0x0
	s_wait_alu 0xfffe
	s_add_nc_u64 s[8:9], s[12:13], s[8:9]
	v_add3_u32 v3, v3, v15, v4
	v_lshlrev_b64_e32 v[4:5], 2, v[5:6]
	v_lshlrev_b64_e32 v[0:1], 2, v[0:1]
	s_add_nc_u64 s[4:5], s[4:5], s[6:7]
	v_lshlrev_b64_e32 v[6:7], 2, v[7:8]
	s_lshl_b64 s[2:3], s[18:19], 2
	s_wait_alu 0xfffe
	v_add_co_u32 v4, vcc_lo, s8, v4
	s_delay_alu instid0(VALU_DEP_1)
	v_add_co_ci_u32_e64 v5, null, s9, v5, vcc_lo
	v_add_co_u32 v8, vcc_lo, s4, v0
	s_wait_alu 0xfffd
	v_add_co_ci_u32_e64 v9, null, s5, v1, vcc_lo
	v_lshlrev_b64_e32 v[0:1], 2, v[2:3]
	s_add_nc_u64 s[2:3], s[16:17], s[2:3]
	flat_load_b32 v4, v[4:5]
	s_wait_alu 0xfffe
	v_add_co_u32 v2, vcc_lo, s2, v6
	s_wait_alu 0xfffd
	v_add_co_ci_u32_e64 v3, null, s3, v7, vcc_lo
	v_add_co_u32 v0, vcc_lo, v8, v0
	s_wait_alu 0xfffd
	v_add_co_ci_u32_e64 v1, null, v9, v1, vcc_lo
	flat_load_b32 v2, v[2:3]
	flat_load_b32 v3, v[0:1]
	s_wait_loadcnt_dscnt 0x202
	v_mul_f32_e32 v4, s0, v4
	s_wait_loadcnt_dscnt 0x0
	s_delay_alu instid0(VALU_DEP_1)
	v_fmac_f32_e32 v3, v4, v2
	flat_store_b32 v[0:1], v3
.LBB7_2:
	s_endpgm
	.section	.rodata,"a",@progbits
	.p2align	6, 0x0
	.amdhsa_kernel _ZN9rocsolver6v33100L10ger_kernelIflfPKPfS4_S4_EEvT0_S5_T1_lT2_lS5_lT3_lS5_lT4_lS5_S5_l
		.amdhsa_group_segment_fixed_size 0
		.amdhsa_private_segment_fixed_size 0
		.amdhsa_kernarg_size 392
		.amdhsa_user_sgpr_count 2
		.amdhsa_user_sgpr_dispatch_ptr 0
		.amdhsa_user_sgpr_queue_ptr 0
		.amdhsa_user_sgpr_kernarg_segment_ptr 1
		.amdhsa_user_sgpr_dispatch_id 0
		.amdhsa_user_sgpr_private_segment_size 0
		.amdhsa_wavefront_size32 1
		.amdhsa_uses_dynamic_stack 0
		.amdhsa_enable_private_segment 0
		.amdhsa_system_sgpr_workgroup_id_x 1
		.amdhsa_system_sgpr_workgroup_id_y 1
		.amdhsa_system_sgpr_workgroup_id_z 1
		.amdhsa_system_sgpr_workgroup_info 0
		.amdhsa_system_vgpr_workitem_id 1
		.amdhsa_next_free_vgpr 16
		.amdhsa_next_free_sgpr 23
		.amdhsa_reserve_vcc 1
		.amdhsa_float_round_mode_32 0
		.amdhsa_float_round_mode_16_64 0
		.amdhsa_float_denorm_mode_32 3
		.amdhsa_float_denorm_mode_16_64 3
		.amdhsa_fp16_overflow 0
		.amdhsa_workgroup_processor_mode 1
		.amdhsa_memory_ordered 1
		.amdhsa_forward_progress 1
		.amdhsa_inst_pref_size 5
		.amdhsa_round_robin_scheduling 0
		.amdhsa_exception_fp_ieee_invalid_op 0
		.amdhsa_exception_fp_denorm_src 0
		.amdhsa_exception_fp_ieee_div_zero 0
		.amdhsa_exception_fp_ieee_overflow 0
		.amdhsa_exception_fp_ieee_underflow 0
		.amdhsa_exception_fp_ieee_inexact 0
		.amdhsa_exception_int_div_zero 0
	.end_amdhsa_kernel
	.section	.text._ZN9rocsolver6v33100L10ger_kernelIflfPKPfS4_S4_EEvT0_S5_T1_lT2_lS5_lT3_lS5_lT4_lS5_S5_l,"axG",@progbits,_ZN9rocsolver6v33100L10ger_kernelIflfPKPfS4_S4_EEvT0_S5_T1_lT2_lS5_lT3_lS5_lT4_lS5_S5_l,comdat
.Lfunc_end7:
	.size	_ZN9rocsolver6v33100L10ger_kernelIflfPKPfS4_S4_EEvT0_S5_T1_lT2_lS5_lT3_lS5_lT4_lS5_S5_l, .Lfunc_end7-_ZN9rocsolver6v33100L10ger_kernelIflfPKPfS4_S4_EEvT0_S5_T1_lT2_lS5_lT3_lS5_lT4_lS5_S5_l
                                        ; -- End function
	.set _ZN9rocsolver6v33100L10ger_kernelIflfPKPfS4_S4_EEvT0_S5_T1_lT2_lS5_lT3_lS5_lT4_lS5_S5_l.num_vgpr, 16
	.set _ZN9rocsolver6v33100L10ger_kernelIflfPKPfS4_S4_EEvT0_S5_T1_lT2_lS5_lT3_lS5_lT4_lS5_S5_l.num_agpr, 0
	.set _ZN9rocsolver6v33100L10ger_kernelIflfPKPfS4_S4_EEvT0_S5_T1_lT2_lS5_lT3_lS5_lT4_lS5_S5_l.numbered_sgpr, 23
	.set _ZN9rocsolver6v33100L10ger_kernelIflfPKPfS4_S4_EEvT0_S5_T1_lT2_lS5_lT3_lS5_lT4_lS5_S5_l.num_named_barrier, 0
	.set _ZN9rocsolver6v33100L10ger_kernelIflfPKPfS4_S4_EEvT0_S5_T1_lT2_lS5_lT3_lS5_lT4_lS5_S5_l.private_seg_size, 0
	.set _ZN9rocsolver6v33100L10ger_kernelIflfPKPfS4_S4_EEvT0_S5_T1_lT2_lS5_lT3_lS5_lT4_lS5_S5_l.uses_vcc, 1
	.set _ZN9rocsolver6v33100L10ger_kernelIflfPKPfS4_S4_EEvT0_S5_T1_lT2_lS5_lT3_lS5_lT4_lS5_S5_l.uses_flat_scratch, 0
	.set _ZN9rocsolver6v33100L10ger_kernelIflfPKPfS4_S4_EEvT0_S5_T1_lT2_lS5_lT3_lS5_lT4_lS5_S5_l.has_dyn_sized_stack, 0
	.set _ZN9rocsolver6v33100L10ger_kernelIflfPKPfS4_S4_EEvT0_S5_T1_lT2_lS5_lT3_lS5_lT4_lS5_S5_l.has_recursion, 0
	.set _ZN9rocsolver6v33100L10ger_kernelIflfPKPfS4_S4_EEvT0_S5_T1_lT2_lS5_lT3_lS5_lT4_lS5_S5_l.has_indirect_call, 0
	.section	.AMDGPU.csdata,"",@progbits
; Kernel info:
; codeLenInByte = 548
; TotalNumSgprs: 25
; NumVgprs: 16
; ScratchSize: 0
; MemoryBound: 0
; FloatMode: 240
; IeeeMode: 1
; LDSByteSize: 0 bytes/workgroup (compile time only)
; SGPRBlocks: 0
; VGPRBlocks: 1
; NumSGPRsForWavesPerEU: 25
; NumVGPRsForWavesPerEU: 16
; Occupancy: 16
; WaveLimiterHint : 1
; COMPUTE_PGM_RSRC2:SCRATCH_EN: 0
; COMPUTE_PGM_RSRC2:USER_SGPR: 2
; COMPUTE_PGM_RSRC2:TRAP_HANDLER: 0
; COMPUTE_PGM_RSRC2:TGID_X_EN: 1
; COMPUTE_PGM_RSRC2:TGID_Y_EN: 1
; COMPUTE_PGM_RSRC2:TGID_Z_EN: 1
; COMPUTE_PGM_RSRC2:TIDIG_COMP_CNT: 1
	.section	.AMDGPU.gpr_maximums,"",@progbits
	.set amdgpu.max_num_vgpr, 0
	.set amdgpu.max_num_agpr, 0
	.set amdgpu.max_num_sgpr, 0
	.section	.AMDGPU.csdata,"",@progbits
	.type	__hip_cuid_eaba314088887a57,@object ; @__hip_cuid_eaba314088887a57
	.section	.bss,"aw",@nobits
	.globl	__hip_cuid_eaba314088887a57
__hip_cuid_eaba314088887a57:
	.byte	0                               ; 0x0
	.size	__hip_cuid_eaba314088887a57, 1

	.ident	"AMD clang version 22.0.0git (https://github.com/RadeonOpenCompute/llvm-project roc-7.2.4 26084 f58b06dce1f9c15707c5f808fd002e18c2accf7e)"
	.section	".note.GNU-stack","",@progbits
	.addrsig
	.addrsig_sym __hip_cuid_eaba314088887a57
	.amdgpu_metadata
---
amdhsa.kernels:
  - .args:
      - .offset:         0
        .size:           4
        .value_kind:     by_value
      - .offset:         4
        .size:           4
        .value_kind:     by_value
      - .address_space:  global
        .offset:         8
        .size:           8
        .value_kind:     global_buffer
      - .offset:         16
        .size:           8
        .value_kind:     by_value
      - .address_space:  global
        .offset:         24
        .size:           8
        .value_kind:     global_buffer
      - .offset:         32
        .size:           8
        .value_kind:     by_value
      - .offset:         40
        .size:           4
        .value_kind:     by_value
      - .offset:         48
        .size:           8
        .value_kind:     by_value
      - .address_space:  global
        .offset:         56
        .size:           8
        .value_kind:     global_buffer
      - .offset:         64
        .size:           8
        .value_kind:     by_value
      - .offset:         72
        .size:           4
        .value_kind:     by_value
      - .offset:         80
        .size:           8
        .value_kind:     by_value
      - .address_space:  global
        .offset:         88
        .size:           8
        .value_kind:     global_buffer
      - .offset:         96
        .size:           8
        .value_kind:     by_value
      - .offset:         104
        .size:           4
        .value_kind:     by_value
      - .offset:         108
        .size:           4
        .value_kind:     by_value
      - .offset:         112
        .size:           8
        .value_kind:     by_value
      - .offset:         120
        .size:           4
        .value_kind:     hidden_block_count_x
      - .offset:         124
        .size:           4
        .value_kind:     hidden_block_count_y
      - .offset:         128
        .size:           4
        .value_kind:     hidden_block_count_z
      - .offset:         132
        .size:           2
        .value_kind:     hidden_group_size_x
      - .offset:         134
        .size:           2
        .value_kind:     hidden_group_size_y
      - .offset:         136
        .size:           2
        .value_kind:     hidden_group_size_z
      - .offset:         138
        .size:           2
        .value_kind:     hidden_remainder_x
      - .offset:         140
        .size:           2
        .value_kind:     hidden_remainder_y
      - .offset:         142
        .size:           2
        .value_kind:     hidden_remainder_z
      - .offset:         160
        .size:           8
        .value_kind:     hidden_global_offset_x
      - .offset:         168
        .size:           8
        .value_kind:     hidden_global_offset_y
      - .offset:         176
        .size:           8
        .value_kind:     hidden_global_offset_z
      - .offset:         184
        .size:           2
        .value_kind:     hidden_grid_dims
    .group_segment_fixed_size: 0
    .kernarg_segment_align: 8
    .kernarg_segment_size: 376
    .language:       OpenCL C
    .language_version:
      - 2
      - 0
    .max_flat_workgroup_size: 1024
    .name:           _ZN9rocsolver6v33100L10ger_kernelIfiPKfPfS4_S4_EEvT0_S5_T1_lT2_lS5_lT3_lS5_lT4_lS5_S5_l
    .private_segment_fixed_size: 0
    .sgpr_count:     29
    .sgpr_spill_count: 0
    .symbol:         _ZN9rocsolver6v33100L10ger_kernelIfiPKfPfS4_S4_EEvT0_S5_T1_lT2_lS5_lT3_lS5_lT4_lS5_S5_l.kd
    .uniform_work_group_size: 1
    .uses_dynamic_stack: false
    .vgpr_count:     7
    .vgpr_spill_count: 0
    .wavefront_size: 32
    .workgroup_processor_mode: 1
  - .args:
      - .offset:         0
        .size:           4
        .value_kind:     by_value
      - .offset:         4
        .size:           4
        .value_kind:     by_value
      - .offset:         8
        .size:           4
        .value_kind:     by_value
      - .offset:         16
        .size:           8
        .value_kind:     by_value
      - .address_space:  global
        .offset:         24
        .size:           8
        .value_kind:     global_buffer
      - .offset:         32
        .size:           8
        .value_kind:     by_value
      - .offset:         40
        .size:           4
        .value_kind:     by_value
      - .offset:         48
        .size:           8
        .value_kind:     by_value
      - .address_space:  global
        .offset:         56
        .size:           8
        .value_kind:     global_buffer
      - .offset:         64
        .size:           8
        .value_kind:     by_value
      - .offset:         72
        .size:           4
        .value_kind:     by_value
      - .offset:         80
        .size:           8
        .value_kind:     by_value
      - .address_space:  global
        .offset:         88
        .size:           8
        .value_kind:     global_buffer
      - .offset:         96
        .size:           8
        .value_kind:     by_value
      - .offset:         104
        .size:           4
        .value_kind:     by_value
      - .offset:         108
        .size:           4
        .value_kind:     by_value
      - .offset:         112
        .size:           8
        .value_kind:     by_value
      - .offset:         120
        .size:           4
        .value_kind:     hidden_block_count_x
      - .offset:         124
        .size:           4
        .value_kind:     hidden_block_count_y
      - .offset:         128
        .size:           4
        .value_kind:     hidden_block_count_z
      - .offset:         132
        .size:           2
        .value_kind:     hidden_group_size_x
      - .offset:         134
        .size:           2
        .value_kind:     hidden_group_size_y
      - .offset:         136
        .size:           2
        .value_kind:     hidden_group_size_z
      - .offset:         138
        .size:           2
        .value_kind:     hidden_remainder_x
      - .offset:         140
        .size:           2
        .value_kind:     hidden_remainder_y
      - .offset:         142
        .size:           2
        .value_kind:     hidden_remainder_z
      - .offset:         160
        .size:           8
        .value_kind:     hidden_global_offset_x
      - .offset:         168
        .size:           8
        .value_kind:     hidden_global_offset_y
      - .offset:         176
        .size:           8
        .value_kind:     hidden_global_offset_z
      - .offset:         184
        .size:           2
        .value_kind:     hidden_grid_dims
    .group_segment_fixed_size: 0
    .kernarg_segment_align: 8
    .kernarg_segment_size: 376
    .language:       OpenCL C
    .language_version:
      - 2
      - 0
    .max_flat_workgroup_size: 1024
    .name:           _ZN9rocsolver6v33100L10ger_kernelIfifPfS2_S2_EEvT0_S3_T1_lT2_lS3_lT3_lS3_lT4_lS3_S3_l
    .private_segment_fixed_size: 0
    .sgpr_count:     29
    .sgpr_spill_count: 0
    .symbol:         _ZN9rocsolver6v33100L10ger_kernelIfifPfS2_S2_EEvT0_S3_T1_lT2_lS3_lT3_lS3_lT4_lS3_S3_l.kd
    .uniform_work_group_size: 1
    .uses_dynamic_stack: false
    .vgpr_count:     7
    .vgpr_spill_count: 0
    .wavefront_size: 32
    .workgroup_processor_mode: 1
  - .args:
      - .offset:         0
        .size:           4
        .value_kind:     by_value
      - .offset:         4
        .size:           4
        .value_kind:     by_value
      - .address_space:  global
        .offset:         8
        .size:           8
        .value_kind:     global_buffer
      - .offset:         16
        .size:           8
        .value_kind:     by_value
      - .address_space:  global
        .offset:         24
        .size:           8
        .value_kind:     global_buffer
      - .offset:         32
        .size:           8
        .value_kind:     by_value
      - .offset:         40
        .size:           4
        .value_kind:     by_value
      - .offset:         48
        .size:           8
        .value_kind:     by_value
      - .address_space:  global
        .offset:         56
        .size:           8
        .value_kind:     global_buffer
      - .offset:         64
        .size:           8
        .value_kind:     by_value
      - .offset:         72
        .size:           4
        .value_kind:     by_value
      - .offset:         80
        .size:           8
        .value_kind:     by_value
      - .address_space:  global
        .offset:         88
        .size:           8
        .value_kind:     global_buffer
      - .offset:         96
        .size:           8
        .value_kind:     by_value
      - .offset:         104
        .size:           4
        .value_kind:     by_value
      - .offset:         108
        .size:           4
        .value_kind:     by_value
      - .offset:         112
        .size:           8
        .value_kind:     by_value
      - .offset:         120
        .size:           4
        .value_kind:     hidden_block_count_x
      - .offset:         124
        .size:           4
        .value_kind:     hidden_block_count_y
      - .offset:         128
        .size:           4
        .value_kind:     hidden_block_count_z
      - .offset:         132
        .size:           2
        .value_kind:     hidden_group_size_x
      - .offset:         134
        .size:           2
        .value_kind:     hidden_group_size_y
      - .offset:         136
        .size:           2
        .value_kind:     hidden_group_size_z
      - .offset:         138
        .size:           2
        .value_kind:     hidden_remainder_x
      - .offset:         140
        .size:           2
        .value_kind:     hidden_remainder_y
      - .offset:         142
        .size:           2
        .value_kind:     hidden_remainder_z
      - .offset:         160
        .size:           8
        .value_kind:     hidden_global_offset_x
      - .offset:         168
        .size:           8
        .value_kind:     hidden_global_offset_y
      - .offset:         176
        .size:           8
        .value_kind:     hidden_global_offset_z
      - .offset:         184
        .size:           2
        .value_kind:     hidden_grid_dims
    .group_segment_fixed_size: 0
    .kernarg_segment_align: 8
    .kernarg_segment_size: 376
    .language:       OpenCL C
    .language_version:
      - 2
      - 0
    .max_flat_workgroup_size: 1024
    .name:           _ZN9rocsolver6v33100L10ger_kernelIfiPKfPKPfS6_S6_EEvT0_S7_T1_lT2_lS7_lT3_lS7_lT4_lS7_S7_l
    .private_segment_fixed_size: 0
    .sgpr_count:     25
    .sgpr_spill_count: 0
    .symbol:         _ZN9rocsolver6v33100L10ger_kernelIfiPKfPKPfS6_S6_EEvT0_S7_T1_lT2_lS7_lT3_lS7_lT4_lS7_S7_l.kd
    .uniform_work_group_size: 1
    .uses_dynamic_stack: false
    .vgpr_count:     6
    .vgpr_spill_count: 0
    .wavefront_size: 32
    .workgroup_processor_mode: 1
  - .args:
      - .offset:         0
        .size:           4
        .value_kind:     by_value
      - .offset:         4
        .size:           4
        .value_kind:     by_value
      - .offset:         8
        .size:           4
        .value_kind:     by_value
      - .offset:         16
        .size:           8
        .value_kind:     by_value
      - .address_space:  global
        .offset:         24
        .size:           8
        .value_kind:     global_buffer
      - .offset:         32
        .size:           8
        .value_kind:     by_value
      - .offset:         40
        .size:           4
        .value_kind:     by_value
      - .offset:         48
        .size:           8
        .value_kind:     by_value
      - .address_space:  global
        .offset:         56
        .size:           8
        .value_kind:     global_buffer
      - .offset:         64
        .size:           8
        .value_kind:     by_value
      - .offset:         72
        .size:           4
        .value_kind:     by_value
      - .offset:         80
        .size:           8
        .value_kind:     by_value
      - .address_space:  global
        .offset:         88
        .size:           8
        .value_kind:     global_buffer
      - .offset:         96
        .size:           8
        .value_kind:     by_value
      - .offset:         104
        .size:           4
        .value_kind:     by_value
      - .offset:         108
        .size:           4
        .value_kind:     by_value
      - .offset:         112
        .size:           8
        .value_kind:     by_value
      - .offset:         120
        .size:           4
        .value_kind:     hidden_block_count_x
      - .offset:         124
        .size:           4
        .value_kind:     hidden_block_count_y
      - .offset:         128
        .size:           4
        .value_kind:     hidden_block_count_z
      - .offset:         132
        .size:           2
        .value_kind:     hidden_group_size_x
      - .offset:         134
        .size:           2
        .value_kind:     hidden_group_size_y
      - .offset:         136
        .size:           2
        .value_kind:     hidden_group_size_z
      - .offset:         138
        .size:           2
        .value_kind:     hidden_remainder_x
      - .offset:         140
        .size:           2
        .value_kind:     hidden_remainder_y
      - .offset:         142
        .size:           2
        .value_kind:     hidden_remainder_z
      - .offset:         160
        .size:           8
        .value_kind:     hidden_global_offset_x
      - .offset:         168
        .size:           8
        .value_kind:     hidden_global_offset_y
      - .offset:         176
        .size:           8
        .value_kind:     hidden_global_offset_z
      - .offset:         184
        .size:           2
        .value_kind:     hidden_grid_dims
    .group_segment_fixed_size: 0
    .kernarg_segment_align: 8
    .kernarg_segment_size: 376
    .language:       OpenCL C
    .language_version:
      - 2
      - 0
    .max_flat_workgroup_size: 1024
    .name:           _ZN9rocsolver6v33100L10ger_kernelIfifPKPfS4_S4_EEvT0_S5_T1_lT2_lS5_lT3_lS5_lT4_lS5_S5_l
    .private_segment_fixed_size: 0
    .sgpr_count:     22
    .sgpr_spill_count: 0
    .symbol:         _ZN9rocsolver6v33100L10ger_kernelIfifPKPfS4_S4_EEvT0_S5_T1_lT2_lS5_lT3_lS5_lT4_lS5_S5_l.kd
    .uniform_work_group_size: 1
    .uses_dynamic_stack: false
    .vgpr_count:     6
    .vgpr_spill_count: 0
    .wavefront_size: 32
    .workgroup_processor_mode: 1
  - .args:
      - .offset:         0
        .size:           8
        .value_kind:     by_value
      - .offset:         8
        .size:           8
        .value_kind:     by_value
      - .address_space:  global
        .offset:         16
        .size:           8
        .value_kind:     global_buffer
      - .offset:         24
        .size:           8
        .value_kind:     by_value
      - .address_space:  global
        .offset:         32
        .size:           8
        .value_kind:     global_buffer
      - .offset:         40
        .size:           8
        .value_kind:     by_value
      - .offset:         48
        .size:           8
        .value_kind:     by_value
      - .offset:         56
        .size:           8
        .value_kind:     by_value
      - .address_space:  global
        .offset:         64
        .size:           8
        .value_kind:     global_buffer
      - .offset:         72
        .size:           8
        .value_kind:     by_value
      - .offset:         80
        .size:           8
        .value_kind:     by_value
      - .offset:         88
        .size:           8
        .value_kind:     by_value
      - .address_space:  global
        .offset:         96
        .size:           8
        .value_kind:     global_buffer
      - .offset:         104
        .size:           8
        .value_kind:     by_value
      - .offset:         112
        .size:           8
        .value_kind:     by_value
      - .offset:         120
        .size:           8
        .value_kind:     by_value
      - .offset:         128
        .size:           8
        .value_kind:     by_value
      - .offset:         136
        .size:           4
        .value_kind:     hidden_block_count_x
      - .offset:         140
        .size:           4
        .value_kind:     hidden_block_count_y
      - .offset:         144
        .size:           4
        .value_kind:     hidden_block_count_z
      - .offset:         148
        .size:           2
        .value_kind:     hidden_group_size_x
      - .offset:         150
        .size:           2
        .value_kind:     hidden_group_size_y
      - .offset:         152
        .size:           2
        .value_kind:     hidden_group_size_z
      - .offset:         154
        .size:           2
        .value_kind:     hidden_remainder_x
      - .offset:         156
        .size:           2
        .value_kind:     hidden_remainder_y
      - .offset:         158
        .size:           2
        .value_kind:     hidden_remainder_z
      - .offset:         176
        .size:           8
        .value_kind:     hidden_global_offset_x
      - .offset:         184
        .size:           8
        .value_kind:     hidden_global_offset_y
      - .offset:         192
        .size:           8
        .value_kind:     hidden_global_offset_z
      - .offset:         200
        .size:           2
        .value_kind:     hidden_grid_dims
    .group_segment_fixed_size: 0
    .kernarg_segment_align: 8
    .kernarg_segment_size: 392
    .language:       OpenCL C
    .language_version:
      - 2
      - 0
    .max_flat_workgroup_size: 1024
    .name:           _ZN9rocsolver6v33100L10ger_kernelIflPKfPfS4_S4_EEvT0_S5_T1_lT2_lS5_lT3_lS5_lT4_lS5_S5_l
    .private_segment_fixed_size: 0
    .sgpr_count:     54
    .sgpr_spill_count: 0
    .symbol:         _ZN9rocsolver6v33100L10ger_kernelIflPKfPfS4_S4_EEvT0_S5_T1_lT2_lS5_lT3_lS5_lT4_lS5_S5_l.kd
    .uniform_work_group_size: 1
    .uses_dynamic_stack: false
    .vgpr_count:     12
    .vgpr_spill_count: 0
    .wavefront_size: 32
    .workgroup_processor_mode: 1
  - .args:
      - .offset:         0
        .size:           8
        .value_kind:     by_value
      - .offset:         8
        .size:           8
        .value_kind:     by_value
      - .offset:         16
        .size:           4
        .value_kind:     by_value
      - .offset:         24
        .size:           8
        .value_kind:     by_value
      - .address_space:  global
        .offset:         32
        .size:           8
        .value_kind:     global_buffer
      - .offset:         40
        .size:           8
        .value_kind:     by_value
      - .offset:         48
        .size:           8
        .value_kind:     by_value
      - .offset:         56
        .size:           8
        .value_kind:     by_value
      - .address_space:  global
        .offset:         64
        .size:           8
        .value_kind:     global_buffer
      - .offset:         72
        .size:           8
        .value_kind:     by_value
      - .offset:         80
        .size:           8
        .value_kind:     by_value
      - .offset:         88
        .size:           8
        .value_kind:     by_value
      - .address_space:  global
        .offset:         96
        .size:           8
        .value_kind:     global_buffer
      - .offset:         104
        .size:           8
        .value_kind:     by_value
      - .offset:         112
        .size:           8
        .value_kind:     by_value
      - .offset:         120
        .size:           8
        .value_kind:     by_value
      - .offset:         128
        .size:           8
        .value_kind:     by_value
      - .offset:         136
        .size:           4
        .value_kind:     hidden_block_count_x
      - .offset:         140
        .size:           4
        .value_kind:     hidden_block_count_y
      - .offset:         144
        .size:           4
        .value_kind:     hidden_block_count_z
      - .offset:         148
        .size:           2
        .value_kind:     hidden_group_size_x
      - .offset:         150
        .size:           2
        .value_kind:     hidden_group_size_y
      - .offset:         152
        .size:           2
        .value_kind:     hidden_group_size_z
      - .offset:         154
        .size:           2
        .value_kind:     hidden_remainder_x
      - .offset:         156
        .size:           2
        .value_kind:     hidden_remainder_y
      - .offset:         158
        .size:           2
        .value_kind:     hidden_remainder_z
      - .offset:         176
        .size:           8
        .value_kind:     hidden_global_offset_x
      - .offset:         184
        .size:           8
        .value_kind:     hidden_global_offset_y
      - .offset:         192
        .size:           8
        .value_kind:     hidden_global_offset_z
      - .offset:         200
        .size:           2
        .value_kind:     hidden_grid_dims
    .group_segment_fixed_size: 0
    .kernarg_segment_align: 8
    .kernarg_segment_size: 392
    .language:       OpenCL C
    .language_version:
      - 2
      - 0
    .max_flat_workgroup_size: 1024
    .name:           _ZN9rocsolver6v33100L10ger_kernelIflfPfS2_S2_EEvT0_S3_T1_lT2_lS3_lT3_lS3_lT4_lS3_S3_l
    .private_segment_fixed_size: 0
    .sgpr_count:     32
    .sgpr_spill_count: 0
    .symbol:         _ZN9rocsolver6v33100L10ger_kernelIflfPfS2_S2_EEvT0_S3_T1_lT2_lS3_lT3_lS3_lT4_lS3_S3_l.kd
    .uniform_work_group_size: 1
    .uses_dynamic_stack: false
    .vgpr_count:     17
    .vgpr_spill_count: 0
    .wavefront_size: 32
    .workgroup_processor_mode: 1
  - .args:
      - .offset:         0
        .size:           8
        .value_kind:     by_value
      - .offset:         8
        .size:           8
        .value_kind:     by_value
      - .address_space:  global
        .offset:         16
        .size:           8
        .value_kind:     global_buffer
      - .offset:         24
        .size:           8
        .value_kind:     by_value
      - .address_space:  global
        .offset:         32
        .size:           8
        .value_kind:     global_buffer
      - .offset:         40
        .size:           8
        .value_kind:     by_value
      - .offset:         48
        .size:           8
        .value_kind:     by_value
      - .offset:         56
        .size:           8
        .value_kind:     by_value
      - .address_space:  global
        .offset:         64
        .size:           8
        .value_kind:     global_buffer
      - .offset:         72
        .size:           8
        .value_kind:     by_value
      - .offset:         80
        .size:           8
        .value_kind:     by_value
      - .offset:         88
        .size:           8
        .value_kind:     by_value
      - .address_space:  global
        .offset:         96
        .size:           8
        .value_kind:     global_buffer
      - .offset:         104
        .size:           8
        .value_kind:     by_value
      - .offset:         112
        .size:           8
        .value_kind:     by_value
      - .offset:         120
        .size:           8
        .value_kind:     by_value
      - .offset:         128
        .size:           8
        .value_kind:     by_value
      - .offset:         136
        .size:           4
        .value_kind:     hidden_block_count_x
      - .offset:         140
        .size:           4
        .value_kind:     hidden_block_count_y
      - .offset:         144
        .size:           4
        .value_kind:     hidden_block_count_z
      - .offset:         148
        .size:           2
        .value_kind:     hidden_group_size_x
      - .offset:         150
        .size:           2
        .value_kind:     hidden_group_size_y
      - .offset:         152
        .size:           2
        .value_kind:     hidden_group_size_z
      - .offset:         154
        .size:           2
        .value_kind:     hidden_remainder_x
      - .offset:         156
        .size:           2
        .value_kind:     hidden_remainder_y
      - .offset:         158
        .size:           2
        .value_kind:     hidden_remainder_z
      - .offset:         176
        .size:           8
        .value_kind:     hidden_global_offset_x
      - .offset:         184
        .size:           8
        .value_kind:     hidden_global_offset_y
      - .offset:         192
        .size:           8
        .value_kind:     hidden_global_offset_z
      - .offset:         200
        .size:           2
        .value_kind:     hidden_grid_dims
    .group_segment_fixed_size: 0
    .kernarg_segment_align: 8
    .kernarg_segment_size: 392
    .language:       OpenCL C
    .language_version:
      - 2
      - 0
    .max_flat_workgroup_size: 1024
    .name:           _ZN9rocsolver6v33100L10ger_kernelIflPKfPKPfS6_S6_EEvT0_S7_T1_lT2_lS7_lT3_lS7_lT4_lS7_S7_l
    .private_segment_fixed_size: 0
    .sgpr_count:     30
    .sgpr_spill_count: 0
    .symbol:         _ZN9rocsolver6v33100L10ger_kernelIflPKfPKPfS6_S6_EEvT0_S7_T1_lT2_lS7_lT3_lS7_lT4_lS7_S7_l.kd
    .uniform_work_group_size: 1
    .uses_dynamic_stack: false
    .vgpr_count:     16
    .vgpr_spill_count: 0
    .wavefront_size: 32
    .workgroup_processor_mode: 1
  - .args:
      - .offset:         0
        .size:           8
        .value_kind:     by_value
      - .offset:         8
        .size:           8
        .value_kind:     by_value
      - .offset:         16
        .size:           4
        .value_kind:     by_value
      - .offset:         24
        .size:           8
        .value_kind:     by_value
      - .address_space:  global
        .offset:         32
        .size:           8
        .value_kind:     global_buffer
      - .offset:         40
        .size:           8
        .value_kind:     by_value
      - .offset:         48
        .size:           8
        .value_kind:     by_value
      - .offset:         56
        .size:           8
        .value_kind:     by_value
      - .address_space:  global
        .offset:         64
        .size:           8
        .value_kind:     global_buffer
      - .offset:         72
        .size:           8
        .value_kind:     by_value
      - .offset:         80
        .size:           8
        .value_kind:     by_value
      - .offset:         88
        .size:           8
        .value_kind:     by_value
      - .address_space:  global
        .offset:         96
        .size:           8
        .value_kind:     global_buffer
      - .offset:         104
        .size:           8
        .value_kind:     by_value
      - .offset:         112
        .size:           8
        .value_kind:     by_value
      - .offset:         120
        .size:           8
        .value_kind:     by_value
      - .offset:         128
        .size:           8
        .value_kind:     by_value
      - .offset:         136
        .size:           4
        .value_kind:     hidden_block_count_x
      - .offset:         140
        .size:           4
        .value_kind:     hidden_block_count_y
      - .offset:         144
        .size:           4
        .value_kind:     hidden_block_count_z
      - .offset:         148
        .size:           2
        .value_kind:     hidden_group_size_x
      - .offset:         150
        .size:           2
        .value_kind:     hidden_group_size_y
      - .offset:         152
        .size:           2
        .value_kind:     hidden_group_size_z
      - .offset:         154
        .size:           2
        .value_kind:     hidden_remainder_x
      - .offset:         156
        .size:           2
        .value_kind:     hidden_remainder_y
      - .offset:         158
        .size:           2
        .value_kind:     hidden_remainder_z
      - .offset:         176
        .size:           8
        .value_kind:     hidden_global_offset_x
      - .offset:         184
        .size:           8
        .value_kind:     hidden_global_offset_y
      - .offset:         192
        .size:           8
        .value_kind:     hidden_global_offset_z
      - .offset:         200
        .size:           2
        .value_kind:     hidden_grid_dims
    .group_segment_fixed_size: 0
    .kernarg_segment_align: 8
    .kernarg_segment_size: 392
    .language:       OpenCL C
    .language_version:
      - 2
      - 0
    .max_flat_workgroup_size: 1024
    .name:           _ZN9rocsolver6v33100L10ger_kernelIflfPKPfS4_S4_EEvT0_S5_T1_lT2_lS5_lT3_lS5_lT4_lS5_S5_l
    .private_segment_fixed_size: 0
    .sgpr_count:     25
    .sgpr_spill_count: 0
    .symbol:         _ZN9rocsolver6v33100L10ger_kernelIflfPKPfS4_S4_EEvT0_S5_T1_lT2_lS5_lT3_lS5_lT4_lS5_S5_l.kd
    .uniform_work_group_size: 1
    .uses_dynamic_stack: false
    .vgpr_count:     16
    .vgpr_spill_count: 0
    .wavefront_size: 32
    .workgroup_processor_mode: 1
amdhsa.target:   amdgcn-amd-amdhsa--gfx1201
amdhsa.version:
  - 1
  - 2
...

	.end_amdgpu_metadata
